;; amdgpu-corpus repo=ROCm/rocFFT kind=compiled arch=gfx1030 opt=O3
	.text
	.amdgcn_target "amdgcn-amd-amdhsa--gfx1030"
	.amdhsa_code_object_version 6
	.protected	fft_rtc_back_len1248_factors_2_2_13_2_3_2_2_wgs_52_tpt_52_halfLds_sp_op_CI_CI_sbrr_dirReg ; -- Begin function fft_rtc_back_len1248_factors_2_2_13_2_3_2_2_wgs_52_tpt_52_halfLds_sp_op_CI_CI_sbrr_dirReg
	.globl	fft_rtc_back_len1248_factors_2_2_13_2_3_2_2_wgs_52_tpt_52_halfLds_sp_op_CI_CI_sbrr_dirReg
	.p2align	8
	.type	fft_rtc_back_len1248_factors_2_2_13_2_3_2_2_wgs_52_tpt_52_halfLds_sp_op_CI_CI_sbrr_dirReg,@function
fft_rtc_back_len1248_factors_2_2_13_2_3_2_2_wgs_52_tpt_52_halfLds_sp_op_CI_CI_sbrr_dirReg: ; @fft_rtc_back_len1248_factors_2_2_13_2_3_2_2_wgs_52_tpt_52_halfLds_sp_op_CI_CI_sbrr_dirReg
; %bb.0:
	s_clause 0x2
	s_load_dwordx4 s[16:19], s[4:5], 0x18
	s_load_dwordx4 s[12:15], s[4:5], 0x0
	;; [unrolled: 1-line block ×3, first 2 shown]
	v_mul_u32_u24_e32 v1, 0x4ed, v0
	v_mov_b32_e32 v3, 0
	s_waitcnt lgkmcnt(0)
	s_load_dwordx2 s[20:21], s[16:17], 0x0
	s_load_dwordx2 s[2:3], s[18:19], 0x0
	v_cmp_lt_u64_e64 s0, s[14:15], 2
	v_add_nc_u32_sdwa v5, s6, v1 dst_sel:DWORD dst_unused:UNUSED_PAD src0_sel:DWORD src1_sel:WORD_1
	v_mov_b32_e32 v1, 0
	v_mov_b32_e32 v6, v3
	;; [unrolled: 1-line block ×3, first 2 shown]
	s_and_b32 vcc_lo, exec_lo, s0
	s_cbranch_vccnz .LBB0_8
; %bb.1:
	s_load_dwordx2 s[0:1], s[4:5], 0x10
	v_mov_b32_e32 v1, 0
	v_mov_b32_e32 v2, 0
	s_add_u32 s6, s18, 8
	s_addc_u32 s7, s19, 0
	s_add_u32 s22, s16, 8
	s_addc_u32 s23, s17, 0
	v_mov_b32_e32 v27, v2
	v_mov_b32_e32 v26, v1
	s_mov_b64 s[26:27], 1
	s_waitcnt lgkmcnt(0)
	s_add_u32 s24, s0, 8
	s_addc_u32 s25, s1, 0
.LBB0_2:                                ; =>This Inner Loop Header: Depth=1
	s_load_dwordx2 s[28:29], s[24:25], 0x0
                                        ; implicit-def: $vgpr28_vgpr29
	s_mov_b32 s0, exec_lo
	s_waitcnt lgkmcnt(0)
	v_or_b32_e32 v4, s29, v6
	v_cmpx_ne_u64_e32 0, v[3:4]
	s_xor_b32 s1, exec_lo, s0
	s_cbranch_execz .LBB0_4
; %bb.3:                                ;   in Loop: Header=BB0_2 Depth=1
	v_cvt_f32_u32_e32 v4, s28
	v_cvt_f32_u32_e32 v7, s29
	s_sub_u32 s0, 0, s28
	s_subb_u32 s30, 0, s29
	v_fmac_f32_e32 v4, 0x4f800000, v7
	v_rcp_f32_e32 v4, v4
	v_mul_f32_e32 v4, 0x5f7ffffc, v4
	v_mul_f32_e32 v7, 0x2f800000, v4
	v_trunc_f32_e32 v7, v7
	v_fmac_f32_e32 v4, 0xcf800000, v7
	v_cvt_u32_f32_e32 v7, v7
	v_cvt_u32_f32_e32 v4, v4
	v_mul_lo_u32 v8, s0, v7
	v_mul_hi_u32 v9, s0, v4
	v_mul_lo_u32 v10, s30, v4
	v_add_nc_u32_e32 v8, v9, v8
	v_mul_lo_u32 v9, s0, v4
	v_add_nc_u32_e32 v8, v8, v10
	v_mul_hi_u32 v10, v4, v9
	v_mul_lo_u32 v11, v4, v8
	v_mul_hi_u32 v12, v4, v8
	v_mul_hi_u32 v13, v7, v9
	v_mul_lo_u32 v9, v7, v9
	v_mul_hi_u32 v14, v7, v8
	v_mul_lo_u32 v8, v7, v8
	v_add_co_u32 v10, vcc_lo, v10, v11
	v_add_co_ci_u32_e32 v11, vcc_lo, 0, v12, vcc_lo
	v_add_co_u32 v9, vcc_lo, v10, v9
	v_add_co_ci_u32_e32 v9, vcc_lo, v11, v13, vcc_lo
	v_add_co_ci_u32_e32 v10, vcc_lo, 0, v14, vcc_lo
	v_add_co_u32 v8, vcc_lo, v9, v8
	v_add_co_ci_u32_e32 v9, vcc_lo, 0, v10, vcc_lo
	v_add_co_u32 v4, vcc_lo, v4, v8
	v_add_co_ci_u32_e32 v7, vcc_lo, v7, v9, vcc_lo
	v_mul_hi_u32 v8, s0, v4
	v_mul_lo_u32 v10, s30, v4
	v_mul_lo_u32 v9, s0, v7
	v_add_nc_u32_e32 v8, v8, v9
	v_mul_lo_u32 v9, s0, v4
	v_add_nc_u32_e32 v8, v8, v10
	v_mul_hi_u32 v10, v4, v9
	v_mul_lo_u32 v11, v4, v8
	v_mul_hi_u32 v12, v4, v8
	v_mul_hi_u32 v13, v7, v9
	v_mul_lo_u32 v9, v7, v9
	v_mul_hi_u32 v14, v7, v8
	v_mul_lo_u32 v8, v7, v8
	v_add_co_u32 v10, vcc_lo, v10, v11
	v_add_co_ci_u32_e32 v11, vcc_lo, 0, v12, vcc_lo
	v_add_co_u32 v9, vcc_lo, v10, v9
	v_add_co_ci_u32_e32 v9, vcc_lo, v11, v13, vcc_lo
	v_add_co_ci_u32_e32 v10, vcc_lo, 0, v14, vcc_lo
	v_add_co_u32 v8, vcc_lo, v9, v8
	v_add_co_ci_u32_e32 v9, vcc_lo, 0, v10, vcc_lo
	v_add_co_u32 v4, vcc_lo, v4, v8
	v_add_co_ci_u32_e32 v11, vcc_lo, v7, v9, vcc_lo
	v_mul_hi_u32 v13, v5, v4
	v_mad_u64_u32 v[9:10], null, v6, v4, 0
	v_mad_u64_u32 v[7:8], null, v5, v11, 0
	v_mad_u64_u32 v[11:12], null, v6, v11, 0
	v_add_co_u32 v4, vcc_lo, v13, v7
	v_add_co_ci_u32_e32 v7, vcc_lo, 0, v8, vcc_lo
	v_add_co_u32 v4, vcc_lo, v4, v9
	v_add_co_ci_u32_e32 v4, vcc_lo, v7, v10, vcc_lo
	v_add_co_ci_u32_e32 v7, vcc_lo, 0, v12, vcc_lo
	v_add_co_u32 v4, vcc_lo, v4, v11
	v_add_co_ci_u32_e32 v9, vcc_lo, 0, v7, vcc_lo
	v_mul_lo_u32 v10, s29, v4
	v_mad_u64_u32 v[7:8], null, s28, v4, 0
	v_mul_lo_u32 v11, s28, v9
	v_sub_co_u32 v7, vcc_lo, v5, v7
	v_add3_u32 v8, v8, v11, v10
	v_sub_nc_u32_e32 v10, v6, v8
	v_subrev_co_ci_u32_e64 v10, s0, s29, v10, vcc_lo
	v_add_co_u32 v11, s0, v4, 2
	v_add_co_ci_u32_e64 v12, s0, 0, v9, s0
	v_sub_co_u32 v13, s0, v7, s28
	v_sub_co_ci_u32_e32 v8, vcc_lo, v6, v8, vcc_lo
	v_subrev_co_ci_u32_e64 v10, s0, 0, v10, s0
	v_cmp_le_u32_e32 vcc_lo, s28, v13
	v_cmp_eq_u32_e64 s0, s29, v8
	v_cndmask_b32_e64 v13, 0, -1, vcc_lo
	v_cmp_le_u32_e32 vcc_lo, s29, v10
	v_cndmask_b32_e64 v14, 0, -1, vcc_lo
	v_cmp_le_u32_e32 vcc_lo, s28, v7
	;; [unrolled: 2-line block ×3, first 2 shown]
	v_cndmask_b32_e64 v15, 0, -1, vcc_lo
	v_cmp_eq_u32_e32 vcc_lo, s29, v10
	v_cndmask_b32_e64 v7, v15, v7, s0
	v_cndmask_b32_e32 v10, v14, v13, vcc_lo
	v_add_co_u32 v13, vcc_lo, v4, 1
	v_add_co_ci_u32_e32 v14, vcc_lo, 0, v9, vcc_lo
	v_cmp_ne_u32_e32 vcc_lo, 0, v10
	v_cndmask_b32_e32 v8, v14, v12, vcc_lo
	v_cndmask_b32_e32 v10, v13, v11, vcc_lo
	v_cmp_ne_u32_e32 vcc_lo, 0, v7
	v_cndmask_b32_e32 v29, v9, v8, vcc_lo
	v_cndmask_b32_e32 v28, v4, v10, vcc_lo
.LBB0_4:                                ;   in Loop: Header=BB0_2 Depth=1
	s_andn2_saveexec_b32 s0, s1
	s_cbranch_execz .LBB0_6
; %bb.5:                                ;   in Loop: Header=BB0_2 Depth=1
	v_cvt_f32_u32_e32 v4, s28
	s_sub_i32 s1, 0, s28
	v_mov_b32_e32 v29, v3
	v_rcp_iflag_f32_e32 v4, v4
	v_mul_f32_e32 v4, 0x4f7ffffe, v4
	v_cvt_u32_f32_e32 v4, v4
	v_mul_lo_u32 v7, s1, v4
	v_mul_hi_u32 v7, v4, v7
	v_add_nc_u32_e32 v4, v4, v7
	v_mul_hi_u32 v4, v5, v4
	v_mul_lo_u32 v7, v4, s28
	v_add_nc_u32_e32 v8, 1, v4
	v_sub_nc_u32_e32 v7, v5, v7
	v_subrev_nc_u32_e32 v9, s28, v7
	v_cmp_le_u32_e32 vcc_lo, s28, v7
	v_cndmask_b32_e32 v7, v7, v9, vcc_lo
	v_cndmask_b32_e32 v4, v4, v8, vcc_lo
	v_cmp_le_u32_e32 vcc_lo, s28, v7
	v_add_nc_u32_e32 v8, 1, v4
	v_cndmask_b32_e32 v28, v4, v8, vcc_lo
.LBB0_6:                                ;   in Loop: Header=BB0_2 Depth=1
	s_or_b32 exec_lo, exec_lo, s0
	v_mul_lo_u32 v4, v29, s28
	v_mul_lo_u32 v9, v28, s29
	s_load_dwordx2 s[0:1], s[22:23], 0x0
	v_mad_u64_u32 v[7:8], null, v28, s28, 0
	s_load_dwordx2 s[28:29], s[6:7], 0x0
	s_add_u32 s26, s26, 1
	s_addc_u32 s27, s27, 0
	s_add_u32 s6, s6, 8
	s_addc_u32 s7, s7, 0
	s_add_u32 s22, s22, 8
	v_add3_u32 v4, v8, v9, v4
	v_sub_co_u32 v5, vcc_lo, v5, v7
	s_addc_u32 s23, s23, 0
	s_add_u32 s24, s24, 8
	v_sub_co_ci_u32_e32 v4, vcc_lo, v6, v4, vcc_lo
	s_addc_u32 s25, s25, 0
	s_waitcnt lgkmcnt(0)
	v_mul_lo_u32 v6, s0, v4
	v_mul_lo_u32 v7, s1, v5
	v_mad_u64_u32 v[1:2], null, s0, v5, v[1:2]
	v_mul_lo_u32 v4, s28, v4
	v_mul_lo_u32 v8, s29, v5
	v_mad_u64_u32 v[26:27], null, s28, v5, v[26:27]
	v_cmp_ge_u64_e64 s0, s[26:27], s[14:15]
	v_add3_u32 v2, v7, v2, v6
	v_add3_u32 v27, v8, v27, v4
	s_and_b32 vcc_lo, exec_lo, s0
	s_cbranch_vccnz .LBB0_9
; %bb.7:                                ;   in Loop: Header=BB0_2 Depth=1
	v_mov_b32_e32 v5, v28
	v_mov_b32_e32 v6, v29
	s_branch .LBB0_2
.LBB0_8:
	v_mov_b32_e32 v27, v2
	v_mov_b32_e32 v29, v6
	;; [unrolled: 1-line block ×4, first 2 shown]
.LBB0_9:
	s_load_dwordx2 s[0:1], s[4:5], 0x28
	v_mul_hi_u32 v3, 0x4ec4ec5, v0
	s_lshl_b64 s[6:7], s[14:15], 3
                                        ; implicit-def: $sgpr14_sgpr15
                                        ; implicit-def: $vgpr24
                                        ; implicit-def: $vgpr38
                                        ; implicit-def: $vgpr40
                                        ; implicit-def: $vgpr42
                                        ; implicit-def: $vgpr44
                                        ; implicit-def: $vgpr46
                                        ; implicit-def: $vgpr30
                                        ; implicit-def: $vgpr31
                                        ; implicit-def: $vgpr32
                                        ; implicit-def: $vgpr33
                                        ; implicit-def: $vgpr35
                                        ; implicit-def: $vgpr37
	s_add_u32 s4, s18, s6
	s_addc_u32 s5, s19, s7
	s_waitcnt lgkmcnt(0)
	v_cmp_gt_u64_e32 vcc_lo, s[0:1], v[28:29]
	v_cmp_le_u64_e64 s0, s[0:1], v[28:29]
	s_and_saveexec_b32 s1, s0
	s_xor_b32 s0, exec_lo, s1
	s_cbranch_execz .LBB0_11
; %bb.10:
	v_mul_u32_u24_e32 v1, 52, v3
	s_mov_b64 s[14:15], 0
                                        ; implicit-def: $vgpr3
	v_sub_nc_u32_e32 v24, v0, v1
                                        ; implicit-def: $vgpr0
                                        ; implicit-def: $vgpr1_vgpr2
	v_add_nc_u32_e32 v38, 52, v24
	v_add_nc_u32_e32 v40, 0x68, v24
	;; [unrolled: 1-line block ×11, first 2 shown]
.LBB0_11:
	s_or_saveexec_b32 s1, s0
	v_mov_b32_e32 v5, s14
	v_mov_b32_e32 v56, s15
	;; [unrolled: 1-line block ×24, first 2 shown]
                                        ; implicit-def: $vgpr8
                                        ; implicit-def: $vgpr4
                                        ; implicit-def: $vgpr70
                                        ; implicit-def: $vgpr64
                                        ; implicit-def: $vgpr58
                                        ; implicit-def: $vgpr60
                                        ; implicit-def: $vgpr62
                                        ; implicit-def: $vgpr68
                                        ; implicit-def: $vgpr66
                                        ; implicit-def: $vgpr72
                                        ; implicit-def: $vgpr74
                                        ; implicit-def: $vgpr76
	s_xor_b32 exec_lo, exec_lo, s1
	s_cbranch_execz .LBB0_13
; %bb.12:
	s_add_u32 s6, s16, s6
	s_addc_u32 s7, s17, s7
	v_mul_u32_u24_e32 v3, 52, v3
	s_load_dwordx2 s[6:7], s[6:7], 0x0
	v_sub_nc_u32_e32 v24, v0, v3
	v_lshlrev_b64 v[0:1], 3, v[1:2]
	v_mad_u64_u32 v[3:4], null, s20, v24, 0
	v_add_nc_u32_e32 v14, 0x270, v24
	v_add_nc_u32_e32 v38, 52, v24
	;; [unrolled: 1-line block ×5, first 2 shown]
	v_mad_u64_u32 v[5:6], null, s20, v14, 0
	v_mov_b32_e32 v2, v4
	v_mad_u64_u32 v[7:8], null, s20, v38, 0
	s_waitcnt lgkmcnt(0)
	v_mul_lo_u32 v4, s7, v28
	v_mul_lo_u32 v15, s6, v29
	v_mad_u64_u32 v[9:10], null, s6, v28, 0
	v_mad_u64_u32 v[11:12], null, s21, v24, v[2:3]
	v_mov_b32_e32 v2, v6
	v_mov_b32_e32 v6, v8
	v_mad_u64_u32 v[12:13], null, s20, v17, 0
	v_add3_u32 v10, v10, v15, v4
	v_mad_u64_u32 v[14:15], null, s21, v14, v[2:3]
	v_mov_b32_e32 v4, v11
	v_mad_u64_u32 v[15:16], null, s20, v40, 0
	v_lshlrev_b64 v[8:9], 3, v[9:10]
	v_mad_u64_u32 v[10:11], null, s21, v38, v[6:7]
	v_lshlrev_b64 v[3:4], 3, v[3:4]
	v_mov_b32_e32 v2, v13
	v_mov_b32_e32 v6, v14
	v_add_co_u32 v11, s0, s8, v8
	v_add_co_ci_u32_e64 v9, s0, s9, v9, s0
	v_mov_b32_e32 v8, v10
	v_add_co_u32 v25, s0, v11, v0
	v_add_co_ci_u32_e64 v39, s0, v9, v1, s0
	v_add_nc_u32_e32 v14, 0x2d8, v24
	v_add_co_u32 v3, s0, v25, v3
	v_lshlrev_b64 v[0:1], 3, v[5:6]
	v_add_co_ci_u32_e64 v4, s0, v39, v4, s0
	v_mad_u64_u32 v[5:6], null, s21, v17, v[2:3]
	v_lshlrev_b64 v[6:7], 3, v[7:8]
	v_mov_b32_e32 v2, v16
	v_mad_u64_u32 v[8:9], null, s20, v14, 0
	v_add_co_u32 v0, s0, v25, v0
	v_mov_b32_e32 v13, v5
	v_mad_u64_u32 v[10:11], null, s21, v40, v[2:3]
	v_add_co_ci_u32_e64 v1, s0, v39, v1, s0
	v_mov_b32_e32 v2, v9
	v_add_co_u32 v17, s0, v25, v6
	v_lshlrev_b64 v[5:6], 3, v[12:13]
	v_mov_b32_e32 v16, v10
	v_mad_u64_u32 v[10:11], null, s20, v42, 0
	v_mad_u64_u32 v[12:13], null, s21, v14, v[2:3]
	v_add_nc_u32_e32 v21, 0x30c, v24
	v_add_co_ci_u32_e64 v18, s0, v39, v7, s0
	v_add_co_u32 v13, s0, v25, v5
	v_add_co_ci_u32_e64 v14, s0, v39, v6, s0
	v_lshlrev_b64 v[5:6], 3, v[15:16]
	v_mad_u64_u32 v[15:16], null, s20, v21, 0
	v_mov_b32_e32 v2, v11
	v_mov_b32_e32 v9, v12
	v_add_nc_u32_e32 v44, 0xd0, v24
	v_add_co_u32 v19, s0, v25, v5
	v_mad_u64_u32 v[11:12], null, s21, v42, v[2:3]
	v_add_co_ci_u32_e64 v20, s0, v39, v6, s0
	v_lshlrev_b64 v[5:6], 3, v[8:9]
	v_mov_b32_e32 v2, v16
	v_mad_u64_u32 v[7:8], null, s20, v44, 0
	v_or_b32_e32 v30, 0x340, v24
	v_add_nc_u32_e32 v46, 0x104, v24
	v_mad_u64_u32 v[21:22], null, s21, v21, v[2:3]
	v_add_co_u32 v22, s0, v25, v5
	v_add_co_ci_u32_e64 v23, s0, v39, v6, s0
	v_mov_b32_e32 v2, v8
	v_lshlrev_b64 v[5:6], 3, v[10:11]
	v_mad_u64_u32 v[9:10], null, s20, v30, 0
	v_mov_b32_e32 v16, v21
	v_mad_u64_u32 v[11:12], null, s21, v44, v[2:3]
	v_add_nc_u32_e32 v21, 0x374, v24
	v_add_co_u32 v47, s0, v25, v5
	v_mov_b32_e32 v2, v10
	v_add_co_ci_u32_e64 v48, s0, v39, v6, s0
	v_mov_b32_e32 v8, v11
	v_lshlrev_b64 v[5:6], 3, v[15:16]
	v_mad_u64_u32 v[10:11], null, s21, v30, v[2:3]
	v_mad_u64_u32 v[11:12], null, s20, v46, 0
	;; [unrolled: 1-line block ×3, first 2 shown]
	v_add_nc_u32_e32 v30, 0x138, v24
	v_add_co_u32 v49, s0, v25, v5
	v_add_co_ci_u32_e64 v50, s0, v39, v6, s0
	v_mov_b32_e32 v2, v12
	v_lshlrev_b64 v[5:6], 3, v[7:8]
	v_mov_b32_e32 v7, v16
	v_mad_u64_u32 v[31:32], null, s21, v46, v[2:3]
	v_mad_u64_u32 v[32:33], null, s20, v30, 0
	;; [unrolled: 1-line block ×3, first 2 shown]
	v_add_nc_u32_e32 v21, 0x3a8, v24
	v_add_co_u32 v51, s0, v25, v5
	v_mov_b32_e32 v12, v31
	v_mov_b32_e32 v2, v33
	v_add_nc_u32_e32 v31, 0x16c, v24
	v_mov_b32_e32 v16, v7
	v_add_co_ci_u32_e64 v52, s0, v39, v6, s0
	v_mad_u64_u32 v[7:8], null, s21, v30, v[2:3]
	v_lshlrev_b64 v[5:6], 3, v[9:10]
	v_mad_u64_u32 v[8:9], null, s20, v21, 0
	v_mad_u64_u32 v[34:35], null, s20, v31, 0
	v_add_co_u32 v57, s0, v25, v5
	v_add_co_ci_u32_e64 v58, s0, v39, v6, s0
	v_lshlrev_b64 v[5:6], 3, v[11:12]
	v_mov_b32_e32 v2, v9
	v_mov_b32_e32 v33, v7
	;; [unrolled: 1-line block ×3, first 2 shown]
	v_lshlrev_b64 v[9:10], 3, v[15:16]
	v_mad_u64_u32 v[15:16], null, s21, v21, v[2:3]
	v_add_co_u32 v59, s0, v25, v5
	v_add_co_ci_u32_e64 v60, s0, v39, v6, s0
	v_lshlrev_b64 v[5:6], 3, v[32:33]
	v_add_nc_u32_e32 v32, 0x1a0, v24
	v_mad_u64_u32 v[11:12], null, s21, v31, v[11:12]
	v_add_nc_u32_e32 v12, 0x3dc, v24
	v_add_co_u32 v61, s0, v25, v9
	v_mov_b32_e32 v9, v15
	v_mad_u64_u32 v[15:16], null, s20, v32, 0
	v_add_co_ci_u32_e64 v62, s0, v39, v10, s0
	v_mov_b32_e32 v35, v11
	v_mad_u64_u32 v[10:11], null, s20, v12, 0
	v_add_nc_u32_e32 v21, 0x410, v24
	v_add_co_u32 v63, s0, v25, v5
	v_add_co_ci_u32_e64 v64, s0, v39, v6, s0
	v_lshlrev_b64 v[5:6], 3, v[8:9]
	v_mov_b32_e32 v9, v16
	v_lshlrev_b64 v[7:8], 3, v[34:35]
	v_mad_u64_u32 v[34:35], null, s20, v21, 0
	v_mov_b32_e32 v2, v11
	v_mad_u64_u32 v[36:37], null, s21, v32, v[9:10]
	v_add_nc_u32_e32 v33, 0x1d4, v24
	v_add_co_u32 v65, s0, v25, v5
	v_mad_u64_u32 v[11:12], null, s21, v12, v[2:3]
	v_mov_b32_e32 v2, v35
	v_mov_b32_e32 v16, v36
	v_mad_u64_u32 v[36:37], null, s20, v33, 0
	v_add_co_ci_u32_e64 v66, s0, v39, v6, s0
	v_mad_u64_u32 v[5:6], null, s21, v21, v[2:3]
	v_add_co_u32 v67, s0, v25, v7
	v_lshlrev_b64 v[6:7], 3, v[10:11]
	v_mov_b32_e32 v2, v37
	v_add_nc_u32_e32 v12, 0x444, v24
	v_add_co_ci_u32_e64 v68, s0, v39, v8, s0
	v_mov_b32_e32 v35, v5
	v_lshlrev_b64 v[8:9], 3, v[15:16]
	v_add_co_u32 v15, s0, v25, v6
	v_mad_u64_u32 v[5:6], null, s21, v33, v[2:3]
	v_add_co_ci_u32_e64 v16, s0, v39, v7, s0
	v_mad_u64_u32 v[6:7], null, s20, v12, 0
	v_lshlrev_b64 v[10:11], 3, v[34:35]
	v_add_nc_u32_e32 v35, 0x208, v24
	v_add_co_u32 v77, s0, v25, v8
	v_add_co_ci_u32_e64 v78, s0, v39, v9, s0
	v_mad_u64_u32 v[8:9], null, s20, v35, 0
	v_mov_b32_e32 v2, v7
	v_mov_b32_e32 v37, v5
	v_add_nc_u32_e32 v21, 0x478, v24
	v_add_co_u32 v79, s0, v25, v10
	v_mad_u64_u32 v[53:54], null, s21, v12, v[2:3]
	v_mov_b32_e32 v2, v9
	v_lshlrev_b64 v[9:10], 3, v[36:37]
	v_add_nc_u32_e32 v37, 0x23c, v24
	v_add_co_ci_u32_e64 v80, s0, v39, v11, s0
	v_mad_u64_u32 v[11:12], null, s21, v35, v[2:3]
	v_mad_u64_u32 v[54:55], null, s20, v21, 0
	v_add_nc_u32_e32 v12, 0x4ac, v24
	v_mad_u64_u32 v[69:70], null, s20, v37, 0
	v_add_co_u32 v81, s0, v25, v9
	v_mad_u64_u32 v[71:72], null, s20, v12, 0
	v_mov_b32_e32 v9, v11
	v_mov_b32_e32 v7, v53
	;; [unrolled: 1-line block ×4, first 2 shown]
	v_add_co_ci_u32_e64 v82, s0, v39, v10, s0
	v_lshlrev_b64 v[8:9], 3, v[8:9]
	v_mad_u64_u32 v[55:56], null, s21, v21, v[5:6]
	v_lshlrev_b64 v[5:6], 3, v[6:7]
	v_mov_b32_e32 v7, v72
	v_mad_u64_u32 v[10:11], null, s21, v37, v[2:3]
	v_mad_u64_u32 v[11:12], null, s21, v12, v[7:8]
	v_add_co_u32 v83, s0, v25, v5
	v_add_co_ci_u32_e64 v84, s0, v39, v6, s0
	v_lshlrev_b64 v[5:6], 3, v[54:55]
	v_mov_b32_e32 v70, v10
	v_add_co_u32 v85, s0, v25, v8
	v_mov_b32_e32 v72, v11
	v_add_co_ci_u32_e64 v86, s0, v39, v9, s0
	v_lshlrev_b64 v[7:8], 3, v[69:70]
	v_add_co_u32 v9, s0, v25, v5
	v_add_co_ci_u32_e64 v10, s0, v39, v6, s0
	v_lshlrev_b64 v[5:6], 3, v[71:72]
	v_add_co_u32 v87, s0, v25, v7
	v_add_co_ci_u32_e64 v88, s0, v39, v8, s0
	v_add_co_u32 v89, s0, v25, v5
	v_add_co_ci_u32_e64 v90, s0, v39, v6, s0
	s_clause 0x17
	global_load_dwordx2 v[5:6], v[3:4], off
	global_load_dwordx2 v[7:8], v[0:1], off
	;; [unrolled: 1-line block ×24, first 2 shown]
.LBB0_13:
	s_or_b32 exec_lo, exec_lo, s1
	s_waitcnt vmcnt(22)
	v_sub_f32_e32 v1, v5, v7
	s_waitcnt vmcnt(20)
	v_sub_f32_e32 v3, v55, v3
	v_sub_f32_e32 v80, v6, v8
	s_waitcnt vmcnt(18)
	v_sub_f32_e32 v7, v53, v69
	v_lshl_add_u32 v23, v24, 3, 0
	v_fma_f32 v0, v5, 2.0, -v1
	v_lshl_add_u32 v69, v38, 3, 0
	v_fma_f32 v2, v55, 2.0, -v3
	v_fma_f32 v79, v6, 2.0, -v80
	;; [unrolled: 1-line block ×3, first 2 shown]
	v_lshl_add_u32 v53, v40, 3, 0
	s_waitcnt vmcnt(16)
	v_sub_f32_e32 v9, v13, v75
	ds_write_b64 v23, v[0:1]
	s_waitcnt vmcnt(14)
	v_sub_f32_e32 v1, v17, v73
	ds_write_b64 v69, v[2:3]
	;; [unrolled: 3-line block ×3, first 2 shown]
	s_waitcnt vmcnt(10)
	v_sub_f32_e32 v6, v49, v63
	v_fma_f32 v8, v13, 2.0, -v9
	v_lshl_add_u32 v25, v42, 3, 0
	v_fma_f32 v0, v17, 2.0, -v1
	v_lshl_add_u32 v34, v44, 3, 0
	;; [unrolled: 2-line block ×4, first 2 shown]
	s_waitcnt vmcnt(8)
	v_sub_f32_e32 v7, v11, v57
	ds_write_b64 v25, v[8:9]
	ds_write_b64 v34, v[0:1]
	;; [unrolled: 1-line block ×3, first 2 shown]
	s_waitcnt vmcnt(6)
	v_sub_f32_e32 v1, v15, v59
	v_lshl_add_u32 v43, v32, 3, 0
	v_lshl_add_u32 v98, v24, 2, 0
	v_lshlrev_b32_e32 v110, 2, v32
	s_waitcnt vmcnt(4)
	v_sub_f32_e32 v3, v19, v61
	v_lshl_add_u32 v45, v33, 3, 0
	v_lshlrev_b32_e32 v111, 2, v33
	v_sub_f32_e32 v57, v56, v4
	s_waitcnt vmcnt(2)
	v_sub_f32_e32 v9, v47, v65
	v_lshl_add_u32 v101, v35, 3, 0
	v_lshlrev_b32_e32 v112, 2, v35
	ds_write_b64 v39, v[5:6]
	v_fma_f32 v6, v11, 2.0, -v7
	s_waitcnt vmcnt(0)
	v_sub_f32_e32 v11, v51, v67
	v_lshl_add_u32 v102, v37, 3, 0
	v_lshlrev_b32_e32 v107, 2, v42
	v_lshlrev_b32_e32 v113, 2, v37
	v_lshl_add_u32 v41, v31, 3, 0
	v_lshlrev_b32_e32 v104, 2, v44
	v_fma_f32 v0, v15, 2.0, -v1
	v_lshlrev_b32_e32 v106, 2, v46
	v_lshlrev_b32_e32 v108, 2, v30
	;; [unrolled: 1-line block ×3, first 2 shown]
	v_add_nc_u32_e32 v87, 0xc00, v98
	v_sub_nc_u32_e32 v82, v43, v110
	v_fma_f32 v2, v19, 2.0, -v3
	v_lshl_add_u32 v99, v38, 2, 0
	v_sub_nc_u32_e32 v84, v45, v111
	v_add_nc_u32_e32 v78, 0x1000, v98
	v_fma_f32 v56, v56, 2.0, -v57
	v_fma_f32 v8, v47, 2.0, -v9
	v_lshl_add_u32 v100, v40, 2, 0
	v_sub_nc_u32_e32 v85, v101, v112
	v_fma_f32 v10, v51, 2.0, -v11
	v_sub_nc_u32_e32 v59, v25, v107
	v_sub_nc_u32_e32 v90, v102, v113
	v_sub_f32_e32 v55, v54, v70
	v_sub_f32_e32 v15, v14, v76
	ds_write_b64 v41, v[6:7]
	ds_write_b64 v43, v[0:1]
	ds_write_b64 v45, v[2:3]
	ds_write_b64 v101, v[8:9]
	ds_write_b64 v102, v[10:11]
	v_add_nc_u32_e32 v86, 0x800, v98
	v_sub_nc_u32_e32 v61, v34, v104
	v_sub_f32_e32 v19, v18, v74
	s_load_dwordx2 s[4:5], s[4:5], 0x0
	s_waitcnt lgkmcnt(0)
	s_barrier
	buffer_gl0_inv
	v_add_nc_u32_e32 v77, 0xa00, v98
	v_sub_nc_u32_e32 v63, v36, v106
	v_sub_nc_u32_e32 v65, v39, v108
	;; [unrolled: 1-line block ×3, first 2 shown]
	ds_read_b32 v71, v98
	ds_read_b32 v73, v99
	;; [unrolled: 1-line block ×12, first 2 shown]
	ds_read2_b32 v[10:11], v86 offset0:112 offset1:164
	ds_read2_b32 v[6:7], v77 offset0:88 offset1:140
	;; [unrolled: 1-line block ×6, first 2 shown]
	s_waitcnt lgkmcnt(0)
	s_barrier
	buffer_gl0_inv
	ds_write_b64 v23, v[79:80]
	ds_write_b64 v69, v[56:57]
	v_sub_f32_e32 v23, v22, v72
	v_sub_f32_e32 v51, v50, v64
	v_fma_f32 v54, v54, 2.0, -v55
	v_fma_f32 v14, v14, 2.0, -v15
	v_sub_f32_e32 v13, v12, v58
	v_fma_f32 v18, v18, 2.0, -v19
	v_sub_f32_e32 v17, v16, v60
	;; [unrolled: 2-line block ×4, first 2 shown]
	ds_write_b64 v53, v[54:55]
	v_sub_f32_e32 v53, v52, v68
	v_fma_f32 v12, v12, 2.0, -v13
	ds_write_b64 v25, v[14:15]
	ds_write_b64 v34, v[18:19]
	;; [unrolled: 1-line block ×4, first 2 shown]
	v_and_b32_e32 v14, 1, v24
	v_fma_f32 v16, v16, 2.0, -v17
	v_fma_f32 v20, v20, 2.0, -v21
	;; [unrolled: 1-line block ×4, first 2 shown]
	ds_write_b64 v41, v[12:13]
	ds_write_b64 v43, v[16:17]
	;; [unrolled: 1-line block ×4, first 2 shown]
	v_lshlrev_b32_e32 v12, 3, v14
	v_lshlrev_b32_e32 v47, 1, v24
	;; [unrolled: 1-line block ×3, first 2 shown]
	ds_write_b64 v102, v[52:53]
	s_waitcnt lgkmcnt(0)
	s_barrier
	buffer_gl0_inv
	global_load_dwordx2 v[12:13], v12, s[12:13]
	v_lshlrev_b32_e32 v23, 1, v35
	v_lshlrev_b32_e32 v49, 1, v38
	;; [unrolled: 1-line block ×10, first 2 shown]
	v_and_or_b32 v50, 0x7c, v47, v14
	v_and_or_b32 v62, 0x7fc, v22, v14
	;; [unrolled: 1-line block ×3, first 2 shown]
	ds_read_b32 v79, v61
	ds_read_b32 v81, v63
	;; [unrolled: 1-line block ×4, first 2 shown]
	ds_read2_b32 v[22:23], v86 offset0:112 offset1:164
	ds_read_b32 v80, v82
	ds_read_b32 v82, v84
	;; [unrolled: 1-line block ×4, first 2 shown]
	v_and_or_b32 v52, 0xfc, v49, v14
	v_and_or_b32 v53, 0x1fc, v15, v14
	v_and_or_b32 v54, 0x1fc, v16, v14
	v_and_or_b32 v55, 0x3fc, v17, v14
	v_and_or_b32 v56, 0x2fc, v18, v14
	v_and_or_b32 v57, 0x2fc, v19, v14
	v_and_or_b32 v58, 0x3fc, v20, v14
	v_and_or_b32 v60, 0x3fc, v21, v14
	v_and_or_b32 v66, 0x4fc, v48, v14
	v_lshl_add_u32 v90, v50, 2, 0
	ds_read_b32 v103, v98
	ds_read_b32 v120, v99
	;; [unrolled: 1-line block ×4, first 2 shown]
	ds_read2_b32 v[50:51], v77 offset0:88 offset1:140
	ds_read2_b32 v[20:21], v87 offset0:64 offset1:116
	;; [unrolled: 1-line block ×5, first 2 shown]
	v_lshl_add_u32 v93, v52, 2, 0
	v_lshl_add_u32 v94, v53, 2, 0
	;; [unrolled: 1-line block ×11, first 2 shown]
	v_add_nc_u32_e32 v88, 0x200, v98
	v_add_nc_u32_e32 v89, 0x400, v98
	;; [unrolled: 1-line block ×3, first 2 shown]
	s_waitcnt vmcnt(0) lgkmcnt(0)
	s_barrier
	buffer_gl0_inv
	v_cmp_gt_u32_e64 s0, 44, v24
	v_mul_f32_e32 v52, v22, v13
	v_mul_f32_e32 v53, v23, v13
	;; [unrolled: 1-line block ×12, first 2 shown]
	v_fmac_f32_e32 v52, v10, v12
	v_fmac_f32_e32 v53, v11, v12
	;; [unrolled: 1-line block ×12, first 2 shown]
	v_sub_f32_e32 v52, v71, v52
	v_sub_f32_e32 v53, v73, v53
	;; [unrolled: 1-line block ×12, first 2 shown]
	v_fma_f32 v64, v71, 2.0, -v52
	v_fma_f32 v69, v73, 2.0, -v53
	;; [unrolled: 1-line block ×12, first 2 shown]
	ds_write2_b32 v90, v64, v52 offset1:2
	ds_write2_b32 v93, v69, v53 offset1:2
	;; [unrolled: 1-line block ×12, first 2 shown]
	s_waitcnt lgkmcnt(0)
	s_barrier
	buffer_gl0_inv
	ds_read_b32 v134, v98 offset:4608
	ds_read2_b32 v[52:53], v98 offset1:96
	ds_read2_b32 v[74:75], v88 offset0:64 offset1:160
	ds_read2_b32 v[72:73], v89 offset0:128 offset1:224
	ds_read2_b32 v[70:71], v86 offset0:64 offset1:160
	ds_read2_b32 v[68:69], v87 offset1:96
	ds_read2_b32 v[64:65], v48 offset0:64 offset1:160
                                        ; implicit-def: $vgpr67
	s_and_saveexec_b32 s1, s0
	s_cbranch_execz .LBB0_15
; %bb.14:
	ds_read_b32 v105, v99
	ds_read2_b32 v[54:55], v98 offset0:148 offset1:244
	ds_read2_b32 v[56:57], v89 offset0:84 offset1:180
	;; [unrolled: 1-line block ×6, first 2 shown]
.LBB0_15:
	s_or_b32 exec_lo, exec_lo, s1
	v_mul_f32_e32 v10, v10, v13
	v_mul_f32_e32 v6, v6, v13
	;; [unrolled: 1-line block ×5, first 2 shown]
	v_fma_f32 v10, v22, v12, -v10
	v_mul_f32_e32 v11, v11, v13
	v_mul_f32_e32 v7, v7, v13
	v_fma_f32 v6, v50, v12, -v6
	v_mul_f32_e32 v9, v9, v13
	v_mul_f32_e32 v4, v4, v13
	v_fma_f32 v2, v20, v12, -v2
	v_fma_f32 v3, v21, v12, -v3
	;; [unrolled: 1-line block ×3, first 2 shown]
	v_mul_f32_e32 v5, v5, v13
	v_mul_f32_e32 v0, v0, v13
	;; [unrolled: 1-line block ×3, first 2 shown]
	v_sub_f32_e32 v10, v103, v10
	v_fma_f32 v11, v23, v12, -v11
	v_fma_f32 v7, v51, v12, -v7
	;; [unrolled: 1-line block ×7, first 2 shown]
	v_fma_f32 v12, v103, 2.0, -v10
	v_sub_f32_e32 v6, v85, v6
	v_sub_f32_e32 v2, v79, v2
	;; [unrolled: 1-line block ×6, first 2 shown]
	v_fma_f32 v8, v85, 2.0, -v6
	v_fma_f32 v15, v79, 2.0, -v2
	;; [unrolled: 1-line block ×4, first 2 shown]
	v_sub_f32_e32 v77, v76, v9
	v_sub_f32_e32 v85, v80, v4
	;; [unrolled: 1-line block ×5, first 2 shown]
	v_fma_f32 v13, v120, 2.0, -v11
	v_fma_f32 v14, v84, 2.0, -v7
	;; [unrolled: 1-line block ×7, first 2 shown]
	s_waitcnt lgkmcnt(0)
	s_barrier
	buffer_gl0_inv
	ds_write2_b32 v90, v12, v10 offset1:2
	ds_write2_b32 v93, v13, v11 offset1:2
	;; [unrolled: 1-line block ×12, first 2 shown]
	s_waitcnt lgkmcnt(0)
	s_barrier
	buffer_gl0_inv
	ds_read2_b32 v[50:51], v98 offset1:96
	ds_read2_b32 v[96:97], v88 offset0:64 offset1:160
	ds_read2_b32 v[92:93], v89 offset0:128 offset1:224
	;; [unrolled: 1-line block ×3, first 2 shown]
	ds_read2_b32 v[88:89], v87 offset1:96
	ds_read2_b32 v[86:87], v48 offset0:64 offset1:160
	ds_read_b32 v140, v98 offset:4608
                                        ; implicit-def: $vgpr95
	s_and_saveexec_b32 s1, s0
	s_cbranch_execz .LBB0_17
; %bb.16:
	v_add_nc_u32_e32 v0, 0x400, v98
	v_add_nc_u32_e32 v1, 0x800, v98
	;; [unrolled: 1-line block ×5, first 2 shown]
	ds_read_b32 v103, v99
	ds_read2_b32 v[76:77], v98 offset0:148 offset1:244
	ds_read2_b32 v[84:85], v0 offset0:84 offset1:180
	;; [unrolled: 1-line block ×6, first 2 shown]
.LBB0_17:
	s_or_b32 exec_lo, exec_lo, s1
	v_and_b32_e32 v48, 3, v24
	v_sub_nc_u32_e32 v121, 0, v107
	v_lshrrev_b32_e32 v107, 2, v24
	v_sub_nc_u32_e32 v123, 0, v109
	v_sub_nc_u32_e32 v126, 0, v104
	v_mul_u32_u24_e32 v0, 12, v48
	v_sub_nc_u32_e32 v119, 0, v112
	v_mul_u32_u24_e32 v104, 52, v107
	v_sub_nc_u32_e32 v125, 0, v106
	v_sub_nc_u32_e32 v124, 0, v108
	v_lshlrev_b32_e32 v16, 3, v0
	v_sub_nc_u32_e32 v122, 0, v110
	v_or_b32_e32 v106, v104, v48
	v_sub_nc_u32_e32 v120, 0, v111
	v_sub_nc_u32_e32 v118, 0, v113
	s_clause 0x5
	global_load_dwordx4 v[12:15], v16, s[12:13] offset:16
	global_load_dwordx4 v[8:11], v16, s[12:13] offset:32
	;; [unrolled: 1-line block ×6, first 2 shown]
	v_lshrrev_b32_e32 v104, 2, v38
	v_lshl_add_u32 v116, v106, 2, 0
	s_waitcnt vmcnt(0) lgkmcnt(0)
	s_barrier
	buffer_gl0_inv
	v_mul_f32_e32 v139, v51, v13
	v_mul_f32_e32 v137, v96, v15
	;; [unrolled: 1-line block ×7, first 2 shown]
	v_fmac_f32_e32 v139, v53, v12
	v_mul_f32_e32 v135, v97, v9
	v_mul_f32_e32 v144, v75, v9
	;; [unrolled: 1-line block ×5, first 2 shown]
	v_fmac_f32_e32 v137, v74, v14
	v_fmac_f32_e32 v131, v68, v2
	v_fma_f32 v9, v88, v2, -v149
	v_fmac_f32_e32 v117, v54, v12
	v_fmac_f32_e32 v109, v61, v2
	v_fma_f32 v54, v81, v2, -v161
	v_add_f32_e32 v2, v52, v139
	v_mul_f32_e32 v142, v53, v13
	v_mul_f32_e32 v153, v134, v19
	;; [unrolled: 1-line block ×3, first 2 shown]
	v_fmac_f32_e32 v135, v75, v8
	v_add_f32_e32 v2, v2, v137
	v_mul_f32_e32 v143, v74, v15
	v_mul_f32_e32 v145, v72, v11
	;; [unrolled: 1-line block ×14, first 2 shown]
	v_fma_f32 v51, v51, v12, -v142
	v_fma_f32 v19, v140, v18, -v153
	v_mul_f32_e32 v130, v93, v5
	v_fmac_f32_e32 v132, v72, v10
	v_add_f32_e32 v2, v2, v135
	v_mul_f32_e32 v129, v91, v1
	v_mul_f32_e32 v133, v89, v21
	;; [unrolled: 1-line block ×18, first 2 shown]
	v_fma_f32 v23, v96, v14, -v143
	v_fma_f32 v15, v97, v8, -v144
	;; [unrolled: 1-line block ×4, first 2 shown]
	v_fmac_f32_e32 v128, v70, v6
	v_fma_f32 v3, v90, v6, -v147
	v_fma_f32 v5, v91, v0, -v148
	v_fma_f32 v13, v89, v20, -v150
	v_fma_f32 v17, v86, v22, -v151
	v_fma_f32 v21, v87, v16, -v152
	v_fmac_f32_e32 v141, v134, v18
	v_fmac_f32_e32 v106, v59, v6
	v_fma_f32 v1, v83, v6, -v159
	v_sub_f32_e32 v6, v51, v19
	v_fmac_f32_e32 v130, v73, v4
	v_add_f32_e32 v2, v2, v132
	v_fmac_f32_e32 v129, v71, v0
	v_fmac_f32_e32 v133, v69, v20
	;; [unrolled: 1-line block ×5, first 2 shown]
	v_fma_f32 v65, v77, v14, -v155
	v_fmac_f32_e32 v110, v57, v10
	v_fma_f32 v55, v85, v10, -v157
	v_fmac_f32_e32 v108, v58, v4
	;; [unrolled: 2-line block ×3, first 2 shown]
	v_fmac_f32_e32 v111, v62, v20
	v_fmac_f32_e32 v113, v63, v22
	v_fma_f32 v57, v79, v22, -v163
	v_fmac_f32_e32 v115, v66, v16
	v_fmac_f32_e32 v127, v67, v18
	v_fma_f32 v58, v95, v18, -v165
	v_add_f32_e32 v4, v139, v141
	v_sub_f32_e32 v10, v23, v21
	v_sub_f32_e32 v14, v15, v17
	;; [unrolled: 1-line block ×5, first 2 shown]
	v_mul_f32_e32 v62, 0xbeedf032, v6
	v_mul_f32_e32 v63, 0xbf52af12, v6
	v_mul_f32_e32 v66, 0xbf7e222b, v6
	v_mul_f32_e32 v67, 0xbf6f5d39, v6
	v_mul_f32_e32 v69, 0xbf29c268, v6
	v_mul_f32_e32 v6, 0xbe750f2a, v6
	v_add_f32_e32 v2, v2, v130
	v_fma_f32 v68, v76, v12, -v154
	v_fmac_f32_e32 v112, v56, v8
	v_fma_f32 v64, v84, v8, -v156
	v_fma_f32 v0, v80, v0, -v160
	;; [unrolled: 1-line block ×4, first 2 shown]
	v_add_f32_e32 v8, v137, v138
	v_add_f32_e32 v12, v135, v136
	;; [unrolled: 1-line block ×5, first 2 shown]
	v_mul_f32_e32 v70, 0xbf52af12, v10
	v_mul_f32_e32 v71, 0xbf6f5d39, v10
	;; [unrolled: 1-line block ×30, first 2 shown]
	v_fmamk_f32 v95, v4, 0x3f62ad3f, v62
	v_fma_f32 v62, 0x3f62ad3f, v4, -v62
	v_fmamk_f32 v96, v4, 0x3f116cb1, v63
	v_fma_f32 v63, 0x3f116cb1, v4, -v63
	;; [unrolled: 2-line block ×6, first 2 shown]
	v_add_f32_e32 v2, v2, v128
	v_fmamk_f32 v6, v8, 0x3f116cb1, v70
	v_fma_f32 v70, 0x3f116cb1, v8, -v70
	v_fmamk_f32 v143, v8, 0xbeb58ec6, v71
	v_fma_f32 v71, 0xbeb58ec6, v8, -v71
	;; [unrolled: 2-line block ×30, first 2 shown]
	v_add_f32_e32 v61, v52, v95
	v_add_f32_e32 v62, v52, v62
	;; [unrolled: 1-line block ×78, first 2 shown]
	ds_write2_b32 v116, v10, v14 offset0:8 offset1:12
	ds_write2_b32 v116, v18, v22 offset0:16 offset1:20
	;; [unrolled: 1-line block ×5, first 2 shown]
	ds_write2_b32 v116, v2, v6 offset1:4
	ds_write_b32 v116, v8 offset:192
	s_and_saveexec_b32 s1, s0
	s_cbranch_execz .LBB0_19
; %bb.18:
	v_sub_f32_e32 v2, v68, v58
	v_add_f32_e32 v4, v117, v127
	v_sub_f32_e32 v8, v65, v59
	v_add_f32_e32 v6, v114, v115
	v_sub_f32_e32 v14, v64, v57
	v_mul_f32_e32 v12, 0xbe750f2a, v2
	v_add_f32_e32 v10, v112, v113
	v_mul_f32_e32 v20, 0x3eedf032, v8
	v_sub_f32_e32 v18, v55, v56
	v_mul_f32_e32 v61, 0xbf29c268, v14
	v_fma_f32 v22, 0xbf788fa5, v4, -v12
	v_add_f32_e32 v16, v110, v111
	v_fma_f32 v62, 0x3f62ad3f, v6, -v20
	v_sub_f32_e32 v60, v53, v54
	v_mul_f32_e32 v67, 0x3f52af12, v18
	v_add_f32_e32 v22, v105, v22
	v_fma_f32 v69, 0xbf3f9e67, v10, -v61
	v_fmac_f32_e32 v12, 0xbf788fa5, v4
	v_add_f32_e32 v52, v108, v109
	v_fma_f32 v70, 0x3f116cb1, v16, -v67
	v_add_f32_e32 v22, v62, v22
	v_mul_f32_e32 v62, 0xbf6f5d39, v60
	v_fmac_f32_e32 v20, 0x3f62ad3f, v6
	v_add_f32_e32 v12, v105, v12
	v_fmac_f32_e32 v61, 0xbf3f9e67, v10
	v_add_f32_e32 v22, v69, v22
	v_mul_f32_e32 v69, 0xbf29c268, v2
	v_fma_f32 v71, 0xbeb58ec6, v52, -v62
	v_add_f32_e32 v12, v20, v12
	v_mul_f32_e32 v72, 0x3f7e222b, v8
	v_add_f32_e32 v22, v70, v22
	v_fma_f32 v70, 0xbf3f9e67, v4, -v69
	v_sub_f32_e32 v66, v1, v0
	v_add_f32_e32 v12, v61, v12
	v_fmac_f32_e32 v67, 0x3f116cb1, v16
	v_add_f32_e32 v22, v71, v22
	v_add_f32_e32 v61, v105, v70
	v_fma_f32 v70, 0x3df6dbef, v6, -v72
	v_mul_f32_e32 v71, 0xbf52af12, v14
	v_add_f32_e32 v63, v106, v107
	v_mul_f32_e32 v20, 0x3f7e222b, v66
	v_add_f32_e32 v12, v67, v12
	v_fmac_f32_e32 v62, 0xbeb58ec6, v52
	v_add_f32_e32 v61, v70, v61
	v_fma_f32 v67, 0x3f116cb1, v10, -v71
	v_mul_f32_e32 v70, 0x3e750f2a, v18
	v_fma_f32 v73, 0x3df6dbef, v63, -v20
	v_add_f32_e32 v12, v62, v12
	v_fmac_f32_e32 v69, 0xbf3f9e67, v4
	v_add_f32_e32 v61, v67, v61
	v_fma_f32 v62, 0xbf788fa5, v16, -v70
	v_mul_f32_e32 v67, 0x3eedf032, v60
	v_fmac_f32_e32 v20, 0x3df6dbef, v63
	v_add_f32_e32 v69, v105, v69
	v_fmac_f32_e32 v72, 0x3df6dbef, v6
	v_add_f32_e32 v61, v62, v61
	v_fma_f32 v62, 0x3f62ad3f, v52, -v67
	v_add_f32_e32 v12, v20, v12
	v_mul_f32_e32 v20, 0xbf6f5d39, v2
	v_add_f32_e32 v22, v73, v22
	v_add_f32_e32 v69, v72, v69
	v_fmac_f32_e32 v71, 0x3f116cb1, v10
	v_add_f32_e32 v61, v62, v61
	v_mul_f32_e32 v62, 0xbf6f5d39, v66
	v_fma_f32 v72, 0xbeb58ec6, v4, -v20
	v_mul_f32_e32 v73, 0x3f29c268, v8
	v_add_f32_e32 v69, v71, v69
	v_fmac_f32_e32 v70, 0xbf788fa5, v16
	v_fma_f32 v71, 0xbeb58ec6, v63, -v62
	v_add_f32_e32 v72, v105, v72
	v_fma_f32 v74, 0xbf3f9e67, v6, -v73
	v_mul_f32_e32 v75, 0x3eedf032, v14
	v_add_f32_e32 v69, v70, v69
	v_fmac_f32_e32 v67, 0x3f62ad3f, v52
	v_add_f32_e32 v61, v71, v61
	v_add_f32_e32 v70, v74, v72
	v_fma_f32 v71, 0x3f62ad3f, v10, -v75
	v_mul_f32_e32 v72, 0xbf7e222b, v18
	v_fmac_f32_e32 v20, 0xbeb58ec6, v4
	v_add_f32_e32 v67, v67, v69
	v_fmac_f32_e32 v62, 0xbeb58ec6, v63
	v_add_f32_e32 v69, v71, v70
	v_fma_f32 v70, 0x3df6dbef, v16, -v72
	v_mul_f32_e32 v71, 0x3e750f2a, v60
	v_add_f32_e32 v20, v105, v20
	v_fmac_f32_e32 v73, 0xbf3f9e67, v6
	v_add_f32_e32 v62, v62, v67
	v_add_f32_e32 v67, v70, v69
	v_fma_f32 v69, 0xbf788fa5, v52, -v71
	v_mul_f32_e32 v70, 0x3f52af12, v66
	v_mul_f32_e32 v74, 0xbf7e222b, v2
	v_add_f32_e32 v20, v73, v20
	v_fmac_f32_e32 v75, 0x3f62ad3f, v10
	v_add_f32_e32 v67, v69, v67
	v_fma_f32 v69, 0x3f116cb1, v63, -v70
	v_fma_f32 v73, 0x3df6dbef, v4, -v74
	v_mul_f32_e32 v76, 0xbe750f2a, v8
	v_add_f32_e32 v20, v75, v20
	v_fmac_f32_e32 v72, 0x3df6dbef, v16
	v_add_f32_e32 v67, v69, v67
	v_add_f32_e32 v69, v105, v73
	v_fma_f32 v73, 0xbf788fa5, v6, -v76
	v_mul_f32_e32 v75, 0x3f6f5d39, v14
	v_add_f32_e32 v20, v72, v20
	v_fmac_f32_e32 v71, 0xbf788fa5, v52
	v_fmac_f32_e32 v74, 0x3df6dbef, v4
	v_add_f32_e32 v69, v73, v69
	v_fma_f32 v72, 0xbeb58ec6, v10, -v75
	v_mul_f32_e32 v73, 0x3eedf032, v18
	v_add_f32_e32 v20, v71, v20
	v_add_f32_e32 v71, v105, v74
	v_fmac_f32_e32 v76, 0xbf788fa5, v6
	v_fmac_f32_e32 v70, 0x3f116cb1, v63
	v_add_f32_e32 v69, v72, v69
	v_fma_f32 v72, 0x3f62ad3f, v16, -v73
	v_mul_f32_e32 v74, 0xbf52af12, v60
	v_add_f32_e32 v71, v76, v71
	v_fmac_f32_e32 v75, 0xbeb58ec6, v10
	v_add_f32_e32 v20, v70, v20
	v_mul_f32_e32 v70, 0xbf52af12, v2
	v_add_f32_e32 v69, v72, v69
	v_fma_f32 v72, 0x3f116cb1, v52, -v74
	v_add_f32_e32 v71, v75, v71
	v_fmac_f32_e32 v73, 0x3f62ad3f, v16
	v_fma_f32 v75, 0x3f116cb1, v4, -v70
	v_mul_f32_e32 v76, 0xbf6f5d39, v8
	v_add_f32_e32 v69, v72, v69
	v_mul_f32_e32 v72, 0xbf29c268, v66
	v_add_f32_e32 v71, v73, v71
	v_fmac_f32_e32 v74, 0x3f116cb1, v52
	v_add_f32_e32 v75, v105, v75
	v_fma_f32 v77, 0xbeb58ec6, v6, -v76
	v_mul_f32_e32 v78, 0xbe750f2a, v14
	v_fma_f32 v73, 0xbf3f9e67, v63, -v72
	v_add_f32_e32 v71, v74, v71
	v_fmac_f32_e32 v72, 0xbf3f9e67, v63
	v_fmac_f32_e32 v70, 0x3f116cb1, v4
	v_add_f32_e32 v74, v77, v75
	v_fma_f32 v75, 0xbf788fa5, v10, -v78
	v_mul_f32_e32 v77, 0x3f29c268, v18
	v_add_f32_e32 v71, v72, v71
	v_add_f32_e32 v70, v105, v70
	v_fmac_f32_e32 v76, 0xbeb58ec6, v6
	v_add_f32_e32 v72, v75, v74
	v_fma_f32 v74, 0xbf3f9e67, v16, -v77
	v_mul_f32_e32 v75, 0x3f7e222b, v60
	v_add_f32_e32 v79, v105, v117
	v_add_f32_e32 v70, v76, v70
	v_fmac_f32_e32 v78, 0xbf788fa5, v10
	v_add_f32_e32 v72, v74, v72
	v_fma_f32 v74, 0x3df6dbef, v52, -v75
	v_add_f32_e32 v76, v79, v114
	v_fmac_f32_e32 v77, 0xbf3f9e67, v16
	v_add_f32_e32 v70, v78, v70
	v_mul_f32_e32 v2, 0xbeedf032, v2
	v_add_f32_e32 v72, v74, v72
	v_add_f32_e32 v74, v76, v112
	v_mul_f32_e32 v8, 0xbf52af12, v8
	v_add_f32_e32 v70, v77, v70
	v_fma_f32 v77, 0x3f62ad3f, v4, -v2
	v_fmac_f32_e32 v2, 0x3f62ad3f, v4
	v_add_f32_e32 v74, v74, v110
	v_fma_f32 v4, 0x3f116cb1, v6, -v8
	v_fmac_f32_e32 v8, 0x3f116cb1, v6
	v_mul_f32_e32 v14, 0xbf7e222b, v14
	v_add_f32_e32 v2, v105, v2
	v_add_f32_e32 v74, v74, v108
	;; [unrolled: 1-line block ×3, first 2 shown]
	v_mul_f32_e32 v18, 0xbf6f5d39, v18
	v_fma_f32 v77, 0x3df6dbef, v10, -v14
	v_add_f32_e32 v2, v8, v2
	v_add_f32_e32 v74, v74, v106
	v_fmac_f32_e32 v14, 0x3df6dbef, v10
	v_add_f32_e32 v4, v4, v6
	v_fma_f32 v6, 0xbeb58ec6, v16, -v18
	v_fmac_f32_e32 v18, 0xbeb58ec6, v16
	v_add_f32_e32 v8, v74, v107
	v_add_f32_e32 v2, v14, v2
	v_mul_f32_e32 v10, 0xbf29c268, v60
	v_add_f32_e32 v4, v77, v4
	v_mul_f32_e32 v16, 0xbe750f2a, v66
	v_add_f32_e32 v8, v8, v109
	v_add_f32_e32 v2, v18, v2
	v_mul_lo_u32 v18, v104, 52
	v_fma_f32 v14, 0xbf3f9e67, v52, -v10
	v_fmac_f32_e32 v10, 0xbf3f9e67, v52
	v_add_f32_e32 v8, v8, v111
	v_mul_f32_e32 v79, 0x3eedf032, v66
	v_fmac_f32_e32 v75, 0x3df6dbef, v52
	v_add_f32_e32 v4, v6, v4
	v_fma_f32 v6, 0xbf788fa5, v63, -v16
	v_add_f32_e32 v8, v8, v113
	v_add_f32_e32 v2, v10, v2
	v_fmac_f32_e32 v16, 0xbf788fa5, v63
	v_or_b32_e32 v10, v18, v48
	v_fma_f32 v76, 0x3f62ad3f, v63, -v79
	v_add_f32_e32 v8, v8, v115
	v_add_f32_e32 v52, v75, v70
	v_fmac_f32_e32 v79, 0x3f62ad3f, v63
	v_add_f32_e32 v4, v14, v4
	v_add_f32_e32 v2, v16, v2
	;; [unrolled: 1-line block ×3, first 2 shown]
	v_lshl_add_u32 v10, v10, 2, 0
	v_add_f32_e32 v14, v79, v52
	v_add_f32_e32 v16, v73, v69
	;; [unrolled: 1-line block ×4, first 2 shown]
	ds_write2_b32 v10, v8, v2 offset1:4
	ds_write2_b32 v10, v14, v71 offset0:8 offset1:12
	ds_write2_b32 v10, v20, v62 offset0:16 offset1:20
	;; [unrolled: 1-line block ×5, first 2 shown]
	ds_write_b32 v10, v4 offset:192
.LBB0_19:
	s_or_b32 exec_lo, exec_lo, s1
	v_add_f32_e32 v2, v50, v51
	v_add_f32_e32 v4, v51, v19
	v_sub_f32_e32 v6, v139, v141
	v_add_f32_e32 v8, v23, v21
	v_sub_f32_e32 v10, v137, v138
	v_add_f32_e32 v2, v2, v23
	v_mul_f32_e32 v12, 0x3f62ad3f, v4
	v_mul_f32_e32 v14, 0x3f116cb1, v4
	;; [unrolled: 1-line block ×4, first 2 shown]
	v_add_f32_e32 v2, v2, v15
	v_mul_f32_e32 v20, 0xbf3f9e67, v4
	v_mul_f32_e32 v4, 0xbf788fa5, v4
	;; [unrolled: 1-line block ×4, first 2 shown]
	v_add_f32_e32 v2, v2, v11
	v_fmamk_f32 v60, v6, 0x3eedf032, v12
	v_fmac_f32_e32 v12, 0xbeedf032, v6
	v_fmamk_f32 v61, v6, 0x3f52af12, v14
	v_fmac_f32_e32 v14, 0xbf52af12, v6
	v_add_f32_e32 v2, v2, v7
	v_mul_f32_e32 v51, 0xbf788fa5, v8
	v_mul_f32_e32 v52, 0xbf3f9e67, v8
	v_fmamk_f32 v62, v6, 0x3f7e222b, v16
	v_fmac_f32_e32 v16, 0xbf7e222b, v6
	v_add_f32_e32 v2, v2, v3
	v_fmamk_f32 v63, v6, 0x3f6f5d39, v18
	v_fmac_f32_e32 v18, 0xbf6f5d39, v6
	v_fmamk_f32 v66, v6, 0x3f29c268, v20
	v_fmac_f32_e32 v20, 0xbf29c268, v6
	v_add_f32_e32 v2, v2, v5
	v_fmamk_f32 v67, v6, 0x3e750f2a, v4
	v_fmac_f32_e32 v4, 0xbe750f2a, v6
	;; [unrolled: 5-line block ×3, first 2 shown]
	v_add_f32_e32 v12, v50, v12
	v_add_f32_e32 v14, v50, v14
	;; [unrolled: 1-line block ×18, first 2 shown]
	v_fmamk_f32 v19, v10, 0x3e750f2a, v51
	v_fmac_f32_e32 v51, 0xbe750f2a, v10
	v_fmamk_f32 v22, v10, 0xbf29c268, v52
	v_fmac_f32_e32 v52, 0x3f29c268, v10
	v_mul_f32_e32 v23, 0x3df6dbef, v8
	v_add_f32_e32 v15, v15, v17
	v_add_f32_e32 v16, v51, v16
	v_mul_f32_e32 v8, 0x3f62ad3f, v8
	v_add_f32_e32 v18, v52, v18
	v_fmamk_f32 v17, v10, 0xbf7e222b, v23
	v_fmac_f32_e32 v23, 0x3f7e222b, v10
	v_sub_f32_e32 v51, v135, v136
	v_mul_f32_e32 v52, 0x3df6dbef, v15
	v_add_f32_e32 v6, v6, v60
	v_fmamk_f32 v60, v10, 0xbeedf032, v8
	v_fmac_f32_e32 v8, 0x3eedf032, v10
	v_add_f32_e32 v10, v23, v20
	v_fmamk_f32 v20, v51, 0x3f7e222b, v52
	v_mul_f32_e32 v23, 0xbf788fa5, v15
	v_add_f32_e32 v2, v69, v61
	v_add_f32_e32 v4, v8, v4
	v_fmac_f32_e32 v52, 0xbf7e222b, v51
	v_add_f32_e32 v6, v20, v6
	v_fmamk_f32 v8, v51, 0x3e750f2a, v23
	v_mul_f32_e32 v20, 0xbeb58ec6, v15
	v_add_f32_e32 v19, v19, v62
	v_fmac_f32_e32 v23, 0xbe750f2a, v51
	v_add_f32_e32 v12, v52, v12
	v_mul_f32_e32 v52, 0x3f62ad3f, v15
	v_add_f32_e32 v2, v8, v2
	v_fmamk_f32 v8, v51, 0xbf6f5d39, v20
	v_add_f32_e32 v22, v22, v63
	v_add_f32_e32 v14, v23, v14
	v_fmac_f32_e32 v20, 0x3f6f5d39, v51
	v_fmamk_f32 v23, v51, 0xbeedf032, v52
	v_add_f32_e32 v8, v8, v19
	v_mul_f32_e32 v19, 0x3f116cb1, v15
	v_add_f32_e32 v11, v11, v13
	v_add_f32_e32 v17, v17, v66
	;; [unrolled: 1-line block ×4, first 2 shown]
	v_fmamk_f32 v13, v51, 0x3f52af12, v19
	v_mul_f32_e32 v15, 0xbf3f9e67, v15
	v_fmac_f32_e32 v19, 0xbf52af12, v51
	v_sub_f32_e32 v22, v132, v133
	v_mul_f32_e32 v23, 0xbeb58ec6, v11
	v_fmac_f32_e32 v52, 0x3eedf032, v51
	v_add_f32_e32 v13, v13, v17
	v_fmamk_f32 v17, v51, 0x3f29c268, v15
	v_fmac_f32_e32 v15, 0xbf29c268, v51
	v_add_f32_e32 v10, v19, v10
	v_fmamk_f32 v19, v22, 0x3f6f5d39, v23
	v_mul_f32_e32 v51, 0xbf3f9e67, v11
	v_add_f32_e32 v21, v60, v21
	v_add_f32_e32 v4, v15, v4
	v_fmac_f32_e32 v23, 0xbf6f5d39, v22
	v_add_f32_e32 v6, v19, v6
	v_fmamk_f32 v15, v22, 0xbf29c268, v51
	v_mul_f32_e32 v19, 0x3f62ad3f, v11
	v_add_f32_e32 v17, v17, v21
	v_mul_f32_e32 v21, 0x3df6dbef, v11
	v_add_f32_e32 v18, v52, v18
	v_add_f32_e32 v2, v15, v2
	v_fmamk_f32 v15, v22, 0xbeedf032, v19
	v_add_f32_e32 v12, v23, v12
	v_fmac_f32_e32 v19, 0x3eedf032, v22
	v_fmamk_f32 v23, v22, 0x3f7e222b, v21
	v_fmac_f32_e32 v21, 0xbf7e222b, v22
	v_add_f32_e32 v8, v15, v8
	v_mul_f32_e32 v15, 0xbf788fa5, v11
	v_add_f32_e32 v7, v7, v9
	v_add_f32_e32 v16, v19, v16
	;; [unrolled: 1-line block ×4, first 2 shown]
	v_fmamk_f32 v9, v22, 0xbe750f2a, v15
	v_mul_f32_e32 v11, 0x3f116cb1, v11
	v_fmac_f32_e32 v15, 0x3e750f2a, v22
	v_sub_f32_e32 v20, v130, v131
	v_mul_f32_e32 v21, 0xbf3f9e67, v7
	v_fmac_f32_e32 v51, 0x3f29c268, v22
	v_add_f32_e32 v9, v9, v13
	v_fmamk_f32 v13, v22, 0xbf52af12, v11
	v_add_f32_e32 v10, v15, v10
	v_fmac_f32_e32 v11, 0x3f52af12, v22
	v_fmamk_f32 v15, v20, 0x3f29c268, v21
	v_mul_f32_e32 v22, 0x3df6dbef, v7
	v_add_f32_e32 v13, v13, v17
	v_fmac_f32_e32 v21, 0xbf29c268, v20
	v_add_f32_e32 v4, v11, v4
	v_add_f32_e32 v6, v15, v6
	v_fmamk_f32 v11, v20, 0xbf7e222b, v22
	v_mul_f32_e32 v15, 0x3f116cb1, v7
	v_mul_f32_e32 v17, 0xbf788fa5, v7
	v_add_f32_e32 v12, v21, v12
	v_add_f32_e32 v3, v3, v5
	;; [unrolled: 1-line block ×3, first 2 shown]
	v_fmamk_f32 v11, v20, 0x3f52af12, v15
	v_fmac_f32_e32 v15, 0xbf52af12, v20
	v_fmamk_f32 v21, v20, 0xbe750f2a, v17
	v_fmac_f32_e32 v17, 0x3e750f2a, v20
	v_mul_f32_e32 v5, 0xbeb58ec6, v7
	v_add_f32_e32 v8, v11, v8
	v_add_f32_e32 v11, v15, v16
	v_mul_f32_e32 v15, 0x3f62ad3f, v7
	v_add_f32_e32 v70, v17, v18
	v_sub_f32_e32 v71, v128, v129
	v_mul_f32_e32 v17, 0xbf788fa5, v3
	v_fmamk_f32 v18, v20, 0x3f6f5d39, v5
	v_fmamk_f32 v7, v20, 0xbeedf032, v15
	v_fmac_f32_e32 v5, 0xbf6f5d39, v20
	v_add_f32_e32 v14, v51, v14
	v_fmac_f32_e32 v22, 0x3f7e222b, v20
	v_mul_f32_e32 v78, 0x3f116cb1, v3
	v_add_f32_e32 v72, v7, v9
	v_fmamk_f32 v7, v71, 0x3e750f2a, v17
	v_add_f32_e32 v75, v5, v4
	v_mul_f32_e32 v4, 0x3f62ad3f, v3
	v_mul_f32_e32 v5, 0xbf3f9e67, v3
	v_add_f32_e32 v14, v22, v14
	v_fmac_f32_e32 v15, 0x3eedf032, v20
	v_add_f32_e32 v76, v7, v6
	v_fmamk_f32 v6, v71, 0xbeedf032, v4
	v_fmac_f32_e32 v4, 0x3eedf032, v71
	v_add_f32_e32 v16, v21, v19
	v_fmac_f32_e32 v17, 0xbe750f2a, v71
	v_fmamk_f32 v7, v71, 0x3f29c268, v5
	v_fmac_f32_e32 v5, 0xbf29c268, v71
	v_fmamk_f32 v9, v71, 0xbf52af12, v78
	v_add_nc_u32_e32 v23, 0x800, v98
	v_add_nc_u32_e32 v52, 0xc00, v98
	;; [unrolled: 1-line block ×3, first 2 shown]
	v_add_f32_e32 v73, v15, v10
	v_add_f32_e32 v80, v4, v14
	v_add_nc_u32_e32 v14, v25, v121
	v_add_nc_u32_e32 v15, v34, v126
	;; [unrolled: 1-line block ×4, first 2 shown]
	v_add_f32_e32 v74, v18, v13
	v_add_f32_e32 v77, v17, v12
	;; [unrolled: 1-line block ×6, first 2 shown]
	v_mul_f32_e32 v84, 0xbeb58ec6, v3
	v_mul_f32_e32 v85, 0x3df6dbef, v3
	s_waitcnt lgkmcnt(0)
	s_barrier
	buffer_gl0_inv
	ds_read2_b32 v[12:13], v23 offset0:112 offset1:164
	ds_read2_b32 v[4:5], v51 offset0:88 offset1:140
	;; [unrolled: 1-line block ×3, first 2 shown]
	v_add_nc_u32_e32 v16, v36, v125
	v_add_nc_u32_e32 v17, v39, v124
	ds_read2_b32 v[6:7], v52 offset0:168 offset1:220
	v_add_nc_u32_e32 v18, v41, v123
	ds_read_b32 v69, v98
	ds_read_b32 v67, v99
	ds_read_b32 v62, v100
	ds_read_b32 v61, v14
	ds_read_b32 v60, v15
	ds_read_b32 v41, v16
	ds_read_b32 v39, v17
	ds_read_b32 v36, v18
	v_add_nc_u32_e32 v20, v45, v120
	v_add_nc_u32_e32 v21, v101, v119
	;; [unrolled: 1-line block ×3, first 2 shown]
	ds_read2_b32 v[8:9], v34 offset0:16 offset1:68
	ds_read2_b32 v[10:11], v34 offset0:120 offset1:172
	ds_read_b32 v66, v19
	ds_read_b32 v63, v20
	;; [unrolled: 1-line block ×4, first 2 shown]
	v_fmamk_f32 v25, v71, 0x3f6f5d39, v84
	v_fmac_f32_e32 v84, 0xbf6f5d39, v71
	v_fmamk_f32 v86, v71, 0xbf7e222b, v85
	v_fmac_f32_e32 v85, 0x3f7e222b, v71
	v_fmac_f32_e32 v78, 0x3f52af12, v71
	v_add_f32_e32 v25, v25, v72
	v_add_f32_e32 v71, v84, v73
	;; [unrolled: 1-line block ×5, first 2 shown]
	s_waitcnt lgkmcnt(0)
	s_barrier
	buffer_gl0_inv
	ds_write2_b32 v116, v50, v76 offset1:4
	ds_write2_b32 v116, v79, v81 offset0:8 offset1:12
	ds_write2_b32 v116, v83, v25 offset0:16 offset1:20
	;; [unrolled: 1-line block ×5, first 2 shown]
	ds_write_b32 v116, v77 offset:192
	s_and_saveexec_b32 s1, s0
	s_cbranch_execz .LBB0_21
; %bb.20:
	v_add_f32_e32 v25, v103, v68
	v_add_f32_e32 v50, v68, v58
	v_sub_f32_e32 v68, v117, v127
	v_add_f32_e32 v70, v65, v59
	v_sub_f32_e32 v71, v114, v115
	v_add_f32_e32 v25, v25, v65
	v_mul_f32_e32 v65, 0x3f62ad3f, v50
	v_mul_f32_e32 v72, 0x3f116cb1, v50
	;; [unrolled: 1-line block ×4, first 2 shown]
	v_add_f32_e32 v25, v25, v64
	v_mul_f32_e32 v75, 0xbf3f9e67, v50
	v_mul_f32_e32 v50, 0xbf788fa5, v50
	;; [unrolled: 1-line block ×4, first 2 shown]
	v_add_f32_e32 v25, v25, v55
	v_fmamk_f32 v79, v68, 0x3eedf032, v65
	v_fmac_f32_e32 v65, 0xbeedf032, v68
	v_fmamk_f32 v80, v68, 0x3f52af12, v72
	v_fmac_f32_e32 v72, 0xbf52af12, v68
	v_add_f32_e32 v25, v25, v53
	v_mul_f32_e32 v78, 0xbf788fa5, v70
	v_fmamk_f32 v81, v68, 0x3f7e222b, v73
	v_fmac_f32_e32 v73, 0xbf7e222b, v68
	v_fmamk_f32 v82, v68, 0x3f6f5d39, v74
	v_add_f32_e32 v25, v25, v1
	v_fmac_f32_e32 v74, 0xbf6f5d39, v68
	v_fmamk_f32 v83, v68, 0x3f29c268, v75
	v_fmac_f32_e32 v75, 0xbf29c268, v68
	v_fmamk_f32 v84, v68, 0x3e750f2a, v50
	v_add_f32_e32 v25, v25, v0
	v_fmac_f32_e32 v50, 0xbe750f2a, v68
	;; [unrolled: 5-line block ×3, first 2 shown]
	v_add_f32_e32 v65, v103, v65
	v_add_f32_e32 v72, v103, v72
	;; [unrolled: 1-line block ×7, first 2 shown]
	v_fmamk_f32 v76, v71, 0x3e750f2a, v78
	v_add_f32_e32 v25, v25, v57
	v_fmac_f32_e32 v78, 0xbe750f2a, v71
	v_mul_f32_e32 v77, 0x3df6dbef, v70
	v_add_f32_e32 v74, v103, v74
	v_add_f32_e32 v83, v103, v83
	;; [unrolled: 1-line block ×5, first 2 shown]
	v_fmamk_f32 v78, v71, 0xbf7e222b, v77
	v_add_f32_e32 v57, v64, v57
	v_add_f32_e32 v25, v25, v58
	v_mul_f32_e32 v58, 0xbf3f9e67, v70
	v_add_f32_e32 v80, v103, v80
	v_add_f32_e32 v75, v103, v75
	v_mul_f32_e32 v64, 0x3f62ad3f, v70
	v_add_f32_e32 v70, v78, v83
	v_fmamk_f32 v79, v71, 0xbf29c268, v58
	v_fmac_f32_e32 v58, 0x3f29c268, v71
	v_fmac_f32_e32 v77, 0x3f7e222b, v71
	v_mul_f32_e32 v78, 0x3df6dbef, v57
	v_add_f32_e32 v50, v103, v50
	v_add_f32_e32 v68, v85, v80
	;; [unrolled: 1-line block ×3, first 2 shown]
	v_sub_f32_e32 v74, v112, v113
	v_fmamk_f32 v80, v71, 0xbeedf032, v64
	v_fmac_f32_e32 v64, 0x3eedf032, v71
	v_add_f32_e32 v71, v77, v75
	v_mul_f32_e32 v75, 0xbf788fa5, v57
	v_fmamk_f32 v77, v74, 0x3f7e222b, v78
	v_add_f32_e32 v81, v103, v81
	v_add_f32_e32 v50, v64, v50
	v_fmac_f32_e32 v78, 0xbf7e222b, v74
	v_fmamk_f32 v64, v74, 0x3e750f2a, v75
	v_add_f32_e32 v59, v77, v59
	v_fmac_f32_e32 v75, 0xbe750f2a, v74
	v_mul_f32_e32 v77, 0xbeb58ec6, v57
	v_add_f32_e32 v76, v76, v81
	v_add_f32_e32 v65, v78, v65
	;; [unrolled: 1-line block ×3, first 2 shown]
	v_mul_f32_e32 v68, 0x3f62ad3f, v57
	v_add_f32_e32 v72, v75, v72
	v_fmamk_f32 v75, v74, 0xbf6f5d39, v77
	v_mul_f32_e32 v78, 0x3f116cb1, v57
	v_add_f32_e32 v55, v55, v56
	v_fmamk_f32 v81, v74, 0xbeedf032, v68
	v_fmac_f32_e32 v68, 0x3eedf032, v74
	v_add_f32_e32 v75, v75, v76
	v_fmamk_f32 v76, v74, 0x3f52af12, v78
	v_mul_f32_e32 v56, 0xbf3f9e67, v57
	v_fmac_f32_e32 v78, 0xbf52af12, v74
	v_add_f32_e32 v58, v68, v58
	v_sub_f32_e32 v68, v110, v111
	v_add_f32_e32 v57, v76, v70
	v_mul_f32_e32 v70, 0xbeb58ec6, v55
	v_fmac_f32_e32 v77, 0x3f6f5d39, v74
	v_fmamk_f32 v76, v74, 0x3f29c268, v56
	v_fmac_f32_e32 v56, 0xbf29c268, v74
	v_add_f32_e32 v71, v78, v71
	v_mul_f32_e32 v74, 0xbf3f9e67, v55
	v_fmamk_f32 v78, v68, 0x3f6f5d39, v70
	v_add_f32_e32 v82, v103, v82
	v_add_f32_e32 v50, v56, v50
	v_fmac_f32_e32 v70, 0xbf6f5d39, v68
	v_fmamk_f32 v56, v68, 0xbf29c268, v74
	v_add_f32_e32 v59, v78, v59
	v_fmac_f32_e32 v74, 0x3f29c268, v68
	v_mul_f32_e32 v78, 0x3f62ad3f, v55
	v_add_f32_e32 v79, v79, v82
	v_add_f32_e32 v65, v70, v65
	v_add_f32_e32 v56, v56, v64
	v_mul_f32_e32 v64, 0x3df6dbef, v55
	v_add_f32_e32 v70, v74, v72
	v_fmamk_f32 v72, v68, 0xbeedf032, v78
	v_mul_f32_e32 v74, 0xbf788fa5, v55
	v_add_f32_e32 v73, v77, v73
	v_add_f32_e32 v77, v81, v79
	v_fmamk_f32 v79, v68, 0x3f7e222b, v64
	v_fmac_f32_e32 v64, 0xbf7e222b, v68
	v_add_f32_e32 v72, v72, v75
	v_fmamk_f32 v75, v68, 0xbe750f2a, v74
	v_add_f32_e32 v53, v53, v54
	v_mul_f32_e32 v54, 0x3f116cb1, v55
	v_add_f32_e32 v58, v64, v58
	v_fmac_f32_e32 v74, 0x3e750f2a, v68
	v_add_f32_e32 v55, v75, v57
	v_sub_f32_e32 v57, v108, v109
	v_mul_f32_e32 v64, 0xbf3f9e67, v53
	v_add_f32_e32 v84, v103, v84
	v_fmac_f32_e32 v78, 0x3eedf032, v68
	v_fmamk_f32 v75, v68, 0xbf52af12, v54
	v_fmac_f32_e32 v54, 0x3f52af12, v68
	v_add_f32_e32 v68, v74, v71
	v_mul_f32_e32 v71, 0x3df6dbef, v53
	v_fmamk_f32 v74, v57, 0x3f29c268, v64
	v_add_f32_e32 v80, v80, v84
	v_add_f32_e32 v50, v54, v50
	v_fmac_f32_e32 v64, 0xbf29c268, v57
	v_fmamk_f32 v54, v57, 0xbf7e222b, v71
	v_add_f32_e32 v59, v74, v59
	v_mul_f32_e32 v74, 0x3f116cb1, v53
	v_fmac_f32_e32 v71, 0x3f7e222b, v57
	v_add_f32_e32 v76, v76, v80
	v_add_f32_e32 v73, v78, v73
	v_add_f32_e32 v64, v64, v65
	v_add_f32_e32 v54, v54, v56
	v_mul_f32_e32 v56, 0xbf788fa5, v53
	v_fmamk_f32 v65, v57, 0x3f52af12, v74
	v_add_f32_e32 v70, v71, v70
	v_fmac_f32_e32 v74, 0xbf52af12, v57
	v_mul_f32_e32 v71, 0x3f62ad3f, v53
	v_add_f32_e32 v75, v75, v76
	v_fmamk_f32 v76, v57, 0xbe750f2a, v56
	v_add_f32_e32 v65, v65, v72
	v_fmac_f32_e32 v56, 0x3e750f2a, v57
	v_add_f32_e32 v72, v74, v73
	v_fmamk_f32 v73, v57, 0xbeedf032, v71
	v_mul_f32_e32 v53, 0xbeb58ec6, v53
	v_add_f32_e32 v0, v1, v0
	v_fmac_f32_e32 v71, 0x3eedf032, v57
	v_add_f32_e32 v56, v56, v58
	v_add_f32_e32 v1, v73, v55
	v_fmamk_f32 v55, v57, 0x3f6f5d39, v53
	v_sub_f32_e32 v58, v106, v107
	v_mul_f32_e32 v73, 0xbf788fa5, v0
	v_fmac_f32_e32 v53, 0xbf6f5d39, v57
	v_add_f32_e32 v57, v71, v68
	v_mul_f32_e32 v68, 0x3f62ad3f, v0
	v_add_f32_e32 v55, v55, v75
	v_fmamk_f32 v71, v58, 0x3e750f2a, v73
	v_add_f32_e32 v50, v53, v50
	v_mul_f32_e32 v53, 0xbf3f9e67, v0
	v_fmamk_f32 v75, v58, 0xbeedf032, v68
	v_fmac_f32_e32 v68, 0x3eedf032, v58
	v_fmac_f32_e32 v73, 0xbe750f2a, v58
	v_add_f32_e32 v59, v71, v59
	v_fmamk_f32 v71, v58, 0x3f29c268, v53
	v_fmac_f32_e32 v53, 0xbf29c268, v58
	v_add_f32_e32 v68, v68, v70
	v_mul_lo_u32 v70, v104, 52
	v_add_f32_e32 v64, v73, v64
	v_mul_f32_e32 v73, 0x3f116cb1, v0
	v_add_f32_e32 v77, v79, v77
	v_add_f32_e32 v53, v53, v72
	v_mul_f32_e32 v72, 0xbeb58ec6, v0
	v_add_f32_e32 v65, v71, v65
	v_fmamk_f32 v71, v58, 0xbf52af12, v73
	v_fmac_f32_e32 v73, 0x3f52af12, v58
	v_mul_f32_e32 v0, 0x3df6dbef, v0
	v_or_b32_e32 v48, v70, v48
	v_add_f32_e32 v74, v76, v77
	v_fmamk_f32 v70, v58, 0x3f6f5d39, v72
	v_add_f32_e32 v56, v73, v56
	v_fmamk_f32 v73, v58, 0xbf7e222b, v0
	v_fmac_f32_e32 v0, 0x3f7e222b, v58
	v_fmac_f32_e32 v72, 0xbf6f5d39, v58
	v_lshl_add_u32 v48, v48, 2, 0
	v_add_f32_e32 v54, v75, v54
	v_add_f32_e32 v71, v71, v74
	;; [unrolled: 1-line block ×6, first 2 shown]
	ds_write2_b32 v48, v25, v59 offset1:4
	ds_write2_b32 v48, v54, v65 offset0:8 offset1:12
	ds_write2_b32 v48, v71, v1 offset0:16 offset1:20
	;; [unrolled: 1-line block ×5, first 2 shown]
	ds_write_b32 v48, v64 offset:192
.LBB0_21:
	s_or_b32 exec_lo, exec_lo, s1
	v_and_b32_e32 v48, 0xff, v40
	v_and_b32_e32 v50, 0xff, v42
	v_mov_b32_e32 v53, 0x4ec5
	v_mov_b32_e32 v25, 0
	s_waitcnt lgkmcnt(0)
	v_mul_lo_u16 v48, 0x4f, v48
	v_mul_lo_u16 v50, 0x4f, v50
	v_mul_u32_u24_sdwa v68, v44, v53 dst_sel:DWORD dst_unused:UNUSED_PAD src0_sel:WORD_0 src1_sel:DWORD
	v_mul_u32_u24_sdwa v101, v46, v53 dst_sel:DWORD dst_unused:UNUSED_PAD src0_sel:WORD_0 src1_sel:DWORD
	;; [unrolled: 1-line block ×3, first 2 shown]
	v_lshrrev_b16 v48, 12, v48
	v_lshrrev_b16 v50, 12, v50
	v_lshrrev_b32_e32 v54, 20, v68
	v_lshrrev_b32_e32 v55, 20, v101
	;; [unrolled: 1-line block ×3, first 2 shown]
	v_mul_lo_u16 v48, v48, 52
	v_mul_lo_u16 v50, v50, 52
	v_mul_lo_u16 v54, v54, 52
	v_mul_lo_u16 v55, v55, 52
	v_mul_lo_u16 v58, v58, 52
	v_sub_nc_u16 v48, v40, v48
	v_sub_nc_u16 v50, v42, v50
	v_lshlrev_b64 v[0:1], 3, v[24:25]
	v_sub_nc_u16 v54, v44, v54
	v_sub_nc_u16 v55, v46, v55
	v_and_b32_e32 v103, 0xff, v48
	v_and_b32_e32 v104, 0xff, v50
	v_sub_nc_u16 v48, v30, v58
	v_and_b32_e32 v105, 0xffff, v54
	v_add_co_u32 v0, s0, s12, v0
	v_and_b32_e32 v106, 0xffff, v55
	v_add_co_ci_u32_e64 v1, s0, s13, v1, s0
	v_lshlrev_b32_e32 v50, 3, v103
	v_mul_u32_u24_sdwa v55, v31, v53 dst_sel:DWORD dst_unused:UNUSED_PAD src0_sel:WORD_0 src1_sel:DWORD
	v_lshlrev_b32_e32 v54, 3, v104
	v_and_b32_e32 v107, 0xffff, v48
	v_mul_u32_u24_sdwa v48, v32, v53 dst_sel:DWORD dst_unused:UNUSED_PAD src0_sel:WORD_0 src1_sel:DWORD
	v_lshlrev_b32_e32 v70, 3, v105
	v_lshlrev_b32_e32 v72, 3, v106
	s_barrier
	buffer_gl0_inv
	s_clause 0x4
	global_load_dwordx2 v[56:57], v[0:1], off offset:400
	global_load_dwordx2 v[58:59], v50, s[12:13] offset:400
	global_load_dwordx2 v[64:65], v54, s[12:13] offset:400
	;; [unrolled: 1-line block ×4, first 2 shown]
	v_lshrrev_b32_e32 v54, 20, v55
	v_mul_u32_u24_sdwa v74, v33, v53 dst_sel:DWORD dst_unused:UNUSED_PAD src0_sel:WORD_0 src1_sel:DWORD
	v_lshrrev_b32_e32 v48, 20, v48
	v_mul_u32_u24_sdwa v75, v35, v53 dst_sel:DWORD dst_unused:UNUSED_PAD src0_sel:WORD_0 src1_sel:DWORD
	v_mul_u32_u24_sdwa v53, v37, v53 dst_sel:DWORD dst_unused:UNUSED_PAD src0_sel:WORD_0 src1_sel:DWORD
	v_mul_lo_u16 v54, v54, 52
	v_lshrrev_b32_e32 v74, 20, v74
	v_mul_lo_u16 v48, v48, 52
	v_lshrrev_b32_e32 v75, 20, v75
	v_lshrrev_b32_e32 v53, 20, v53
	v_sub_nc_u16 v54, v31, v54
	v_mul_lo_u16 v74, v74, 52
	v_sub_nc_u16 v48, v32, v48
	v_mul_lo_u16 v75, v75, 52
	v_mul_lo_u16 v53, v53, 52
	v_and_b32_e32 v108, 0xffff, v54
	v_sub_nc_u16 v54, v33, v74
	v_and_b32_e32 v109, 0xffff, v48
	v_sub_nc_u16 v48, v35, v75
	v_sub_nc_u16 v53, v37, v53
	v_lshlrev_b32_e32 v50, 3, v107
	v_and_b32_e32 v110, 0xffff, v54
	v_lshlrev_b32_e32 v76, 3, v108
	v_lshlrev_b32_e32 v54, 3, v109
	v_and_b32_e32 v111, 0xffff, v48
	v_and_b32_e32 v112, 0xffff, v53
	v_lshlrev_b32_e32 v48, 3, v110
	s_clause 0x2
	global_load_dwordx2 v[74:75], v50, s[12:13] offset:400
	global_load_dwordx2 v[78:79], v54, s[12:13] offset:400
	;; [unrolled: 1-line block ×3, first 2 shown]
	v_lshlrev_b32_e32 v50, 3, v111
	v_lshlrev_b32_e32 v53, 3, v112
	s_clause 0x2
	global_load_dwordx2 v[80:81], v48, s[12:13] offset:400
	global_load_dwordx2 v[82:83], v50, s[12:13] offset:400
	;; [unrolled: 1-line block ×3, first 2 shown]
	ds_read2_b32 v[86:87], v23 offset0:112 offset1:164
	ds_read_b32 v113, v98
	ds_read_b32 v114, v99
	;; [unrolled: 1-line block ×3, first 2 shown]
	ds_read2_b32 v[88:89], v51 offset0:88 offset1:140
	ds_read2_b32 v[90:91], v52 offset0:64 offset1:116
	;; [unrolled: 1-line block ×4, first 2 shown]
	ds_read_b32 v116, v14
	ds_read_b32 v117, v15
	;; [unrolled: 1-line block ×8, first 2 shown]
	ds_read2_b32 v[96:97], v34 offset0:120 offset1:172
	ds_read_b32 v124, v22
	v_lshl_add_u32 v111, v111, 2, 0
	v_lshl_add_u32 v112, v112, 2, 0
	v_lshrrev_b32_e32 v68, 21, v68
	v_lshl_add_u32 v103, v103, 2, 0
	s_waitcnt vmcnt(0) lgkmcnt(0)
	s_barrier
	buffer_gl0_inv
	v_lshl_add_u32 v104, v104, 2, 0
	v_lshl_add_u32 v105, v105, 2, 0
	;; [unrolled: 1-line block ×4, first 2 shown]
	v_lshrrev_b32_e32 v101, 21, v101
	v_mul_lo_u16 v68, 0x68, v68
	v_lshl_add_u32 v108, v108, 2, 0
	v_lshl_add_u32 v109, v109, 2, 0
	;; [unrolled: 1-line block ×3, first 2 shown]
	v_add_nc_u32_e32 v103, 0x200, v103
	v_add_nc_u32_e32 v104, 0x400, v104
	;; [unrolled: 1-line block ×4, first 2 shown]
	v_lshrrev_b32_e32 v102, 21, v102
	v_add_nc_u32_e32 v107, 0x800, v107
	v_mul_lo_u16 v101, 0x68, v101
	v_add_nc_u32_e32 v108, 0xa00, v108
	v_add_nc_u32_e32 v109, 0xc00, v109
	;; [unrolled: 1-line block ×3, first 2 shown]
	v_mov_b32_e32 v48, v25
	v_add_nc_u32_e32 v53, 0x600, v98
	v_mov_b32_e32 v50, v25
	v_add_nc_u32_e32 v54, 0xe00, v98
	v_lshlrev_b64 v[47:48], 3, v[47:48]
	v_lshlrev_b64 v[49:50], 3, v[49:50]
	v_add_co_u32 v47, s0, s12, v47
	v_add_co_ci_u32_e64 v48, s0, s13, v48, s0
	v_add_co_u32 v49, s0, s12, v49
	v_add_co_ci_u32_e64 v50, s0, s13, v50, s0
	v_mul_f32_e32 v125, v86, v57
	v_mul_f32_e32 v126, v12, v57
	;; [unrolled: 1-line block ×4, first 2 shown]
	v_fmac_f32_e32 v125, v12, v56
	v_fma_f32 v12, v86, v56, -v126
	v_fmac_f32_e32 v127, v13, v56
	v_fma_f32 v13, v87, v56, -v57
	v_mul_f32_e32 v87, v88, v59
	v_sub_f32_e32 v57, v69, v125
	v_sub_f32_e32 v12, v113, v12
	v_add_nc_u32_e32 v56, 0x1000, v111
	v_sub_f32_e32 v13, v114, v13
	v_sub_f32_e32 v86, v67, v127
	v_add_nc_u32_e32 v111, 0x1000, v112
	v_fma_f32 v112, v113, 2.0, -v12
	v_mul_f32_e32 v59, v4, v59
	v_fma_f32 v113, v114, 2.0, -v13
	v_mul_f32_e32 v114, v89, v65
	v_mul_f32_e32 v65, v5, v65
	;; [unrolled: 1-line block ×6, first 2 shown]
	v_fma_f32 v69, v69, 2.0, -v57
	v_fmac_f32_e32 v87, v4, v58
	v_fma_f32 v67, v67, 2.0, -v86
	v_fma_f32 v4, v88, v58, -v59
	v_mul_f32_e32 v127, v92, v75
	v_mul_f32_e32 v75, v6, v75
	v_mul_f32_e32 v128, v93, v77
	v_mul_f32_e32 v77, v7, v77
	v_mul_f32_e32 v129, v94, v79
	v_mul_f32_e32 v79, v8, v79
	v_mul_f32_e32 v130, v95, v81
	v_mul_f32_e32 v81, v9, v81
	v_mul_f32_e32 v131, v96, v83
	v_mul_f32_e32 v132, v97, v85
	v_fmac_f32_e32 v114, v5, v64
	v_fma_f32 v5, v89, v64, -v65
	v_fmac_f32_e32 v125, v2, v70
	v_fma_f32 v2, v90, v70, -v71
	v_fmac_f32_e32 v126, v3, v72
	v_mul_f32_e32 v83, v10, v83
	v_fma_f32 v3, v91, v72, -v73
	v_fmac_f32_e32 v127, v6, v74
	v_mul_f32_e32 v85, v11, v85
	ds_write2_b32 v98, v69, v57 offset1:52
	ds_write2_b32 v98, v67, v86 offset0:104 offset1:156
	v_fma_f32 v6, v92, v74, -v75
	v_fmac_f32_e32 v128, v7, v76
	v_fma_f32 v7, v93, v76, -v77
	v_fmac_f32_e32 v129, v8, v78
	;; [unrolled: 2-line block ×4, first 2 shown]
	v_fmac_f32_e32 v132, v11, v84
	v_sub_f32_e32 v57, v62, v87
	v_sub_f32_e32 v58, v115, v4
	v_sub_f32_e32 v4, v61, v114
	v_sub_f32_e32 v59, v116, v5
	v_sub_f32_e32 v5, v60, v125
	v_sub_f32_e32 v64, v117, v2
	v_sub_f32_e32 v2, v41, v126
	v_fma_f32 v10, v96, v82, -v83
	v_sub_f32_e32 v65, v118, v3
	v_sub_f32_e32 v3, v39, v127
	v_fma_f32 v11, v97, v84, -v85
	v_sub_f32_e32 v67, v119, v6
	v_sub_f32_e32 v6, v36, v128
	;; [unrolled: 1-line block ×9, first 2 shown]
	v_fma_f32 v62, v62, 2.0, -v57
	v_fma_f32 v61, v61, 2.0, -v4
	;; [unrolled: 1-line block ×4, first 2 shown]
	v_sub_f32_e32 v10, v123, v10
	v_fma_f32 v39, v39, 2.0, -v3
	v_sub_f32_e32 v11, v124, v11
	v_fma_f32 v36, v36, 2.0, -v6
	v_fma_f32 v66, v66, 2.0, -v7
	;; [unrolled: 1-line block ×5, first 2 shown]
	ds_write2_b32 v103, v62, v57 offset0:80 offset1:132
	ds_write2_b32 v104, v61, v4 offset0:56 offset1:108
	;; [unrolled: 1-line block ×10, first 2 shown]
	v_sub_nc_u16 v39, v44, v68
	v_lshrrev_b32_e32 v41, 21, v55
	v_fma_f32 v73, v115, 2.0, -v58
	v_fma_f32 v74, v116, 2.0, -v59
	;; [unrolled: 1-line block ×4, first 2 shown]
	v_mul_lo_u16 v43, 0x68, v102
	v_fma_f32 v90, v118, 2.0, -v65
	v_fma_f32 v91, v119, 2.0, -v67
	;; [unrolled: 1-line block ×6, first 2 shown]
	s_waitcnt lgkmcnt(0)
	s_barrier
	buffer_gl0_inv
	ds_read_b32 v2, v98
	ds_read2_b32 v[75:76], v52 offset0:12 offset1:64
	ds_read2_b32 v[77:78], v53 offset0:84 offset1:136
	;; [unrolled: 1-line block ×7, first 2 shown]
	ds_read_b32 v8, v100
	ds_read_b32 v7, v14
	ds_read_b32 v6, v15
	ds_read_b32 v5, v16
	ds_read_b32 v3, v17
	ds_read_b32 v36, v19
	ds_read_b32 v4, v18
	ds_read_b32 v9, v99
	ds_read_b32 v97, v98 offset:4784
	s_waitcnt lgkmcnt(0)
	s_barrier
	buffer_gl0_inv
	ds_write2_b32 v98, v112, v12 offset1:52
	ds_write2_b32 v98, v113, v13 offset0:104 offset1:156
	ds_write2_b32 v103, v73, v58 offset0:80 offset1:132
	;; [unrolled: 1-line block ×11, first 2 shown]
	v_sub_nc_u16 v45, v46, v101
	v_and_b32_e32 v95, 0xffff, v39
	v_mul_lo_u16 v39, 0x68, v41
	v_sub_nc_u16 v41, v30, v43
	s_waitcnt lgkmcnt(0)
	v_and_b32_e32 v96, 0xffff, v45
	v_lshlrev_b32_e32 v43, 4, v95
	v_sub_nc_u16 v39, v31, v39
	v_and_b32_e32 v101, 0xffff, v41
	s_barrier
	v_lshlrev_b32_e32 v41, 4, v96
	buffer_gl0_inv
	v_and_b32_e32 v102, 0xffff, v39
	v_lshlrev_b32_e32 v39, 4, v101
	s_clause 0x3
	global_load_dwordx4 v[10:13], v[47:48], off offset:816
	global_load_dwordx4 v[55:58], v[49:50], off offset:816
	global_load_dwordx4 v[59:62], v43, s[12:13] offset:816
	global_load_dwordx4 v[63:66], v41, s[12:13] offset:816
	v_lshlrev_b32_e32 v41, 4, v102
	s_clause 0x1
	global_load_dwordx4 v[67:70], v39, s[12:13] offset:816
	global_load_dwordx4 v[71:74], v41, s[12:13] offset:816
	v_lshl_add_u32 v116, v101, 2, 0
	v_lshl_add_u32 v117, v102, 2, 0
	ds_read_b32 v122, v19
	ds_read_b32 v123, v98
	ds_read2_b32 v[101:102], v52 offset0:12 offset1:64
	ds_read2_b32 v[103:104], v53 offset0:84 offset1:136
	;; [unrolled: 1-line block ×7, first 2 shown]
	ds_read_b32 v124, v100
	ds_read_b32 v125, v14
	;; [unrolled: 1-line block ×7, first 2 shown]
	ds_read_b32 v131, v98 offset:4784
	v_mov_b32_e32 v39, v25
	v_mov_b32_e32 v41, v25
	;; [unrolled: 1-line block ×4, first 2 shown]
	v_add_co_u32 v93, s0, 0x800, v0
	v_lshlrev_b64 v[38:39], 3, v[38:39]
	v_lshlrev_b64 v[40:41], 3, v[40:41]
	v_add_co_ci_u32_e64 v94, s0, 0, v1, s0
	v_mov_b32_e32 v47, v25
	v_lshlrev_b64 v[48:49], 3, v[42:43]
	v_add_co_u32 v43, s0, s12, v38
	v_lshlrev_b64 v[89:90], 3, v[44:45]
	v_add_co_ci_u32_e64 v44, s0, s13, v39, s0
	v_add_co_u32 v45, s0, s12, v40
	v_lshlrev_b64 v[91:92], 3, v[46:47]
	v_add_co_ci_u32_e64 v46, s0, s13, v41, s0
	v_add_co_u32 v47, s0, s12, v48
	v_add_co_ci_u32_e64 v48, s0, s13, v49, s0
	v_add_co_u32 v39, s0, s12, v89
	;; [unrolled: 2-line block ×6, first 2 shown]
	v_lshl_add_u32 v38, v95, 2, 0
	v_lshl_add_u32 v115, v96, 2, 0
	v_add_co_ci_u32_e64 v92, s0, 0, v48, s0
	v_add_co_u32 v95, s0, 0x800, v39
	v_add_nc_u32_e32 v113, 0x400, v98
	v_add_co_ci_u32_e64 v96, s0, 0, v40, s0
	v_add_nc_u32_e32 v114, 0x400, v99
	v_add_nc_u32_e32 v118, 0x800, v38
	;; [unrolled: 1-line block ×5, first 2 shown]
	s_waitcnt vmcnt(0) lgkmcnt(0)
	s_barrier
	buffer_gl0_inv
	v_mul_f32_e32 v132, v122, v11
	v_mul_f32_e32 v133, v36, v11
	;; [unrolled: 1-line block ×32, first 2 shown]
	v_fmac_f32_e32 v132, v36, v10
	v_fma_f32 v36, v122, v10, -v133
	v_fmac_f32_e32 v134, v76, v12
	v_fma_f32 v76, v102, v12, -v135
	;; [unrolled: 2-line block ×6, first 2 shown]
	v_fmac_f32_e32 v142, v81, v55
	v_fmac_f32_e32 v143, v83, v57
	;; [unrolled: 1-line block ×10, first 2 shown]
	v_fma_f32 v12, v107, v55, -v56
	v_fma_f32 v13, v53, v57, -v58
	;; [unrolled: 1-line block ×10, first 2 shown]
	v_add_f32_e32 v62, v132, v134
	v_sub_f32_e32 v63, v36, v76
	v_add_f32_e32 v64, v123, v36
	v_add_f32_e32 v36, v36, v76
	;; [unrolled: 1-line block ×5, first 2 shown]
	v_sub_f32_e32 v74, v10, v11
	v_add_f32_e32 v75, v124, v10
	v_add_f32_e32 v10, v10, v11
	;; [unrolled: 1-line block ×8, first 2 shown]
	v_sub_f32_e32 v65, v132, v134
	v_sub_f32_e32 v81, v12, v13
	v_add_f32_e32 v82, v125, v12
	v_add_f32_e32 v12, v12, v13
	v_sub_f32_e32 v86, v53, v54
	v_add_f32_e32 v87, v126, v53
	v_add_f32_e32 v53, v53, v54
	;; [unrolled: 3-line block ×5, first 2 shown]
	v_fmac_f32_e32 v2, -0.5, v62
	v_fmac_f32_e32 v123, -0.5, v36
	v_add_f32_e32 v66, v9, v136
	v_sub_f32_e32 v68, v77, v79
	v_add_f32_e32 v69, v130, v77
	v_sub_f32_e32 v71, v136, v138
	v_fmac_f32_e32 v9, -0.5, v67
	v_fmac_f32_e32 v130, -0.5, v70
	v_add_f32_e32 v72, v8, v140
	v_sub_f32_e32 v77, v140, v141
	v_add_f32_e32 v78, v7, v142
	v_add_f32_e32 v84, v6, v144
	;; [unrolled: 1-line block ×5, first 2 shown]
	v_fmac_f32_e32 v8, -0.5, v73
	v_fmac_f32_e32 v124, -0.5, v10
	;; [unrolled: 1-line block ×7, first 2 shown]
	v_sub_f32_e32 v83, v142, v143
	v_sub_f32_e32 v88, v144, v145
	;; [unrolled: 1-line block ×5, first 2 shown]
	v_add_f32_e32 v61, v61, v134
	v_add_f32_e32 v62, v64, v76
	v_fmac_f32_e32 v125, -0.5, v12
	v_fmac_f32_e32 v126, -0.5, v53
	v_fmac_f32_e32 v127, -0.5, v55
	v_add_f32_e32 v55, v108, v58
	v_fmac_f32_e32 v128, -0.5, v57
	v_fmac_f32_e32 v129, -0.5, v59
	v_fmamk_f32 v58, v63, 0xbf5db3d7, v2
	v_fmamk_f32 v59, v65, 0x3f5db3d7, v123
	v_fmac_f32_e32 v2, 0x3f5db3d7, v63
	v_fmac_f32_e32 v123, 0xbf5db3d7, v65
	v_add_f32_e32 v36, v66, v138
	v_add_f32_e32 v64, v69, v79
	;; [unrolled: 1-line block ×3, first 2 shown]
	v_fmamk_f32 v60, v68, 0xbf5db3d7, v9
	v_fmamk_f32 v63, v71, 0x3f5db3d7, v130
	v_fmac_f32_e32 v9, 0x3f5db3d7, v68
	v_fmac_f32_e32 v130, 0xbf5db3d7, v71
	v_add_f32_e32 v66, v72, v141
	v_add_f32_e32 v67, v75, v11
	;; [unrolled: 1-line block ×7, first 2 shown]
	v_fmamk_f32 v65, v74, 0xbf5db3d7, v8
	v_fmac_f32_e32 v8, 0x3f5db3d7, v74
	v_fmamk_f32 v68, v77, 0x3f5db3d7, v124
	v_fmamk_f32 v70, v81, 0xbf5db3d7, v7
	v_fmac_f32_e32 v7, 0x3f5db3d7, v81
	v_fmamk_f32 v72, v86, 0xbf5db3d7, v6
	v_fmac_f32_e32 v6, 0x3f5db3d7, v86
	;; [unrolled: 2-line block ×5, first 2 shown]
	v_add_f32_e32 v54, v87, v54
	v_add_f32_e32 v53, v103, v56
	;; [unrolled: 1-line block ×3, first 2 shown]
	v_fmac_f32_e32 v124, 0xbf5db3d7, v77
	v_fmamk_f32 v71, v83, 0x3f5db3d7, v125
	v_fmac_f32_e32 v125, 0xbf5db3d7, v83
	v_fmamk_f32 v73, v88, 0x3f5db3d7, v126
	;; [unrolled: 2-line block ×5, first 2 shown]
	v_fmac_f32_e32 v129, 0xbf5db3d7, v131
	ds_write2_b32 v98, v61, v58 offset1:104
	ds_write_b32 v98, v2 offset:832
	ds_write2_b32 v99, v36, v60 offset1:104
	ds_write_b32 v99, v9 offset:832
	ds_write2_b32 v113, v66, v65 offset0:56 offset1:160
	ds_write_b32 v98, v8 offset:2080
	ds_write2_b32 v114, v10, v70 offset0:56 offset1:160
	;; [unrolled: 2-line block ×6, first 2 shown]
	ds_write_b32 v117, v4 offset:4576
	s_waitcnt lgkmcnt(0)
	s_barrier
	buffer_gl0_inv
	ds_read2_b32 v[2:3], v23 offset0:112 offset1:164
	ds_read2_b32 v[4:5], v51 offset0:88 offset1:140
	;; [unrolled: 1-line block ×4, first 2 shown]
	ds_read_b32 v36, v98
	ds_read_b32 v76, v99
	;; [unrolled: 1-line block ×8, first 2 shown]
	ds_read2_b32 v[10:11], v34 offset0:16 offset1:68
	ds_read2_b32 v[12:13], v34 offset0:120 offset1:172
	ds_read_b32 v85, v19
	ds_read_b32 v86, v20
	;; [unrolled: 1-line block ×4, first 2 shown]
	s_waitcnt lgkmcnt(0)
	s_barrier
	buffer_gl0_inv
	ds_write2_b32 v98, v62, v59 offset1:104
	ds_write_b32 v98, v123 offset:832
	ds_write2_b32 v99, v64, v63 offset1:104
	ds_write_b32 v99, v130 offset:832
	ds_write2_b32 v113, v67, v68 offset0:56 offset1:160
	ds_write_b32 v98, v124 offset:2080
	ds_write2_b32 v114, v69, v71 offset0:56 offset1:160
	;; [unrolled: 2-line block ×6, first 2 shown]
	ds_write_b32 v117, v129 offset:4576
	v_add_co_u32 v57, s0, 0x800, v41
	v_add_co_ci_u32_e64 v58, s0, 0, v42, s0
	s_waitcnt lgkmcnt(0)
	s_barrier
	buffer_gl0_inv
	s_clause 0x5
	global_load_dwordx2 v[53:54], v[93:94], off offset:432
	global_load_dwordx2 v[49:50], v[49:50], off offset:432
	;; [unrolled: 1-line block ×6, first 2 shown]
	ds_read2_b32 v[63:64], v23 offset0:112 offset1:164
	ds_read2_b32 v[65:66], v51 offset0:88 offset1:140
	;; [unrolled: 1-line block ×4, first 2 shown]
	ds_read_b32 v38, v98
	ds_read_b32 v75, v99
	;; [unrolled: 1-line block ×8, first 2 shown]
	ds_read2_b32 v[71:72], v34 offset0:16 offset1:68
	ds_read2_b32 v[73:74], v34 offset0:120 offset1:172
	ds_read_b32 v93, v19
	ds_read_b32 v94, v20
	;; [unrolled: 1-line block ×4, first 2 shown]
	s_waitcnt vmcnt(0) lgkmcnt(0)
	s_barrier
	buffer_gl0_inv
	v_mul_f32_e32 v97, v63, v54
	v_mul_f32_e32 v101, v2, v54
	;; [unrolled: 1-line block ×24, first 2 shown]
	v_fmac_f32_e32 v97, v2, v53
	v_fma_f32 v2, v63, v53, -v101
	v_fmac_f32_e32 v102, v3, v49
	v_fma_f32 v3, v64, v49, -v103
	;; [unrolled: 2-line block ×12, first 2 shown]
	v_sub_f32_e32 v49, v36, v97
	v_sub_f32_e32 v60, v38, v2
	;; [unrolled: 1-line block ×24, first 2 shown]
	v_fma_f32 v13, v36, 2.0, -v49
	v_fma_f32 v36, v38, 2.0, -v60
	v_fma_f32 v38, v76, 2.0, -v2
	v_fma_f32 v50, v78, 2.0, -v3
	v_fma_f32 v53, v80, 2.0, -v4
	v_fma_f32 v54, v81, 2.0, -v5
	v_fma_f32 v55, v82, 2.0, -v6
	v_fma_f32 v56, v83, 2.0, -v7
	v_fma_f32 v57, v84, 2.0, -v8
	v_fma_f32 v58, v85, 2.0, -v9
	v_fma_f32 v59, v86, 2.0, -v10
	v_fma_f32 v81, v87, 2.0, -v11
	v_fma_f32 v83, v88, 2.0, -v12
	ds_write_b32 v98, v49 offset:1248
	ds_write_b32 v98, v13
	ds_write_b32 v99, v38
	ds_write_b32 v99, v2 offset:1248
	ds_write_b32 v100, v50
	ds_write_b32 v100, v3 offset:1248
	;; [unrolled: 2-line block ×5, first 2 shown]
	ds_write_b32 v98, v56 offset:2496
	ds_write_b32 v98, v7 offset:3744
	;; [unrolled: 1-line block ×12, first 2 shown]
	s_waitcnt lgkmcnt(0)
	s_barrier
	buffer_gl0_inv
	ds_read2_b32 v[10:11], v23 offset0:112 offset1:164
	ds_read2_b32 v[12:13], v51 offset0:88 offset1:140
	ds_read2_b32 v[2:3], v52 offset0:64 offset1:116
	ds_read2_b32 v[4:5], v52 offset0:168 offset1:220
	ds_read_b32 v56, v98
	ds_read_b32 v57, v99
	;; [unrolled: 1-line block ×8, first 2 shown]
	ds_read2_b32 v[6:7], v34 offset0:16 offset1:68
	ds_read2_b32 v[8:9], v34 offset0:120 offset1:172
	ds_read_b32 v52, v19
	ds_read_b32 v53, v20
	;; [unrolled: 1-line block ×4, first 2 shown]
	v_fma_f32 v72, v75, 2.0, -v61
	v_fma_f32 v73, v77, 2.0, -v62
	v_fma_f32 v74, v79, 2.0, -v63
	v_fma_f32 v75, v89, 2.0, -v64
	v_fma_f32 v76, v90, 2.0, -v65
	v_fma_f32 v77, v91, 2.0, -v66
	v_fma_f32 v78, v92, 2.0, -v67
	v_fma_f32 v79, v93, 2.0, -v68
	v_fma_f32 v80, v94, 2.0, -v69
	v_fma_f32 v82, v95, 2.0, -v70
	v_fma_f32 v84, v96, 2.0, -v71
	s_waitcnt lgkmcnt(0)
	s_barrier
	buffer_gl0_inv
	ds_write_b32 v98, v36
	ds_write_b32 v98, v60 offset:1248
	ds_write_b32 v99, v72
	ds_write_b32 v99, v61 offset:1248
	;; [unrolled: 2-line block ×6, first 2 shown]
	ds_write_b32 v98, v77 offset:2496
	ds_write_b32 v98, v66 offset:3744
	;; [unrolled: 1-line block ×12, first 2 shown]
	s_waitcnt lgkmcnt(0)
	s_barrier
	buffer_gl0_inv
	s_and_saveexec_b32 s0, vcc_lo
	s_cbranch_execz .LBB0_23
; %bb.22:
	v_mov_b32_e32 v38, v25
	v_mov_b32_e32 v36, v25
	;; [unrolled: 1-line block ×3, first 2 shown]
	v_lshrrev_b32_e32 v67, 4, v24
	v_add_nc_u32_e32 v68, 52, v24
	v_lshlrev_b64 v[37:38], 3, v[37:38]
	v_lshlrev_b64 v[35:36], 3, v[35:36]
	;; [unrolled: 1-line block ×3, first 2 shown]
	v_add_nc_u32_e32 v69, 0x68, v24
	v_mul_lo_u32 v29, s4, v29
	v_add_nc_u32_e32 v66, 0x800, v98
	v_add_co_u32 v37, vcc_lo, s12, v37
	v_add_co_ci_u32_e32 v38, vcc_lo, s13, v38, vcc_lo
	v_add_co_u32 v60, vcc_lo, s12, v35
	v_add_co_ci_u32_e32 v61, vcc_lo, s13, v36, vcc_lo
	;; [unrolled: 2-line block ×6, first 2 shown]
	v_add_co_u32 v60, vcc_lo, 0x1000, v60
	v_mov_b32_e32 v33, v25
	v_add_co_ci_u32_e32 v61, vcc_lo, 0, v34, vcc_lo
	v_add_co_u32 v45, vcc_lo, 0x1000, v45
	v_add_co_ci_u32_e32 v46, vcc_lo, 0, v46, vcc_lo
	v_lshlrev_b64 v[32:33], 3, v[32:33]
	v_add_co_u32 v43, vcc_lo, 0x1000, v43
	v_add_co_ci_u32_e32 v44, vcc_lo, 0, v44, vcc_lo
	v_add_co_u32 v0, vcc_lo, 0x1000, v0
	v_add_co_ci_u32_e32 v1, vcc_lo, 0, v1, vcc_lo
	;; [unrolled: 2-line block ×3, first 2 shown]
	v_mov_b32_e32 v32, v25
	s_clause 0x3
	global_load_dwordx2 v[47:48], v[47:48], off offset:880
	global_load_dwordx2 v[33:34], v[45:46], off offset:880
	global_load_dwordx2 v[43:44], v[43:44], off offset:880
	global_load_dwordx2 v[45:46], v[0:1], off offset:880
	v_add_co_u32 v0, vcc_lo, 0x1000, v62
	v_add_co_ci_u32_e32 v1, vcc_lo, 0, v63, vcc_lo
	v_lshlrev_b64 v[62:63], 3, v[31:32]
	v_mov_b32_e32 v31, v25
	s_clause 0x3
	global_load_dwordx2 v[35:36], v[35:36], off offset:880
	global_load_dwordx2 v[37:38], v[37:38], off offset:880
	;; [unrolled: 1-line block ×4, first 2 shown]
	v_add_nc_u32_e32 v70, 0x9c, v24
	v_add_nc_u32_e32 v71, 0xd0, v24
	;; [unrolled: 1-line block ×3, first 2 shown]
	v_add_co_u32 v25, vcc_lo, s12, v62
	v_add_co_ci_u32_e32 v32, vcc_lo, s13, v63, vcc_lo
	v_lshlrev_b64 v[0:1], 3, v[30:31]
	v_add_co_u32 v30, vcc_lo, 0x1000, v25
	v_add_co_ci_u32_e32 v31, vcc_lo, 0, v32, vcc_lo
	v_add_nc_u32_e32 v25, 0x1000, v98
	v_add_co_u32 v0, vcc_lo, s12, v0
	global_load_dwordx2 v[30:31], v[30:31], off offset:880
	v_add_co_ci_u32_e32 v1, vcc_lo, s13, v1, vcc_lo
	v_add_co_u32 v0, vcc_lo, 0x1000, v0
	v_mul_lo_u32 v32, s5, v28
	v_add_co_ci_u32_e32 v1, vcc_lo, 0, v1, vcc_lo
	v_add_co_u32 v41, vcc_lo, 0x1000, v41
	v_add_co_ci_u32_e32 v42, vcc_lo, 0, v42, vcc_lo
	v_add_co_u32 v39, vcc_lo, 0x1000, v39
	v_add_co_ci_u32_e32 v40, vcc_lo, 0, v40, vcc_lo
	s_clause 0x2
	global_load_dwordx2 v[62:63], v[0:1], off offset:880
	global_load_dwordx2 v[41:42], v[41:42], off offset:880
	;; [unrolled: 1-line block ×3, first 2 shown]
	v_mad_u64_u32 v[0:1], null, s4, v28, 0
	ds_read_b32 v92, v22
	ds_read_b32 v93, v21
	ds_read_b32 v94, v20
	ds_read_b32 v95, v19
	v_add_nc_u32_e32 v22, 0xc00, v98
	v_add_nc_u32_e32 v28, 0xa00, v98
	ds_read_b32 v96, v18
	ds_read_b32 v97, v17
	;; [unrolled: 1-line block ×8, first 2 shown]
	v_lshlrev_b64 v[14:15], 3, v[26:27]
	ds_read2_b32 v[16:17], v25 offset0:120 offset1:172
	ds_read2_b32 v[18:19], v25 offset0:16 offset1:68
	;; [unrolled: 1-line block ×5, first 2 shown]
	v_mul_hi_u32 v22, 0x1a41a41b, v67
	v_lshrrev_b32_e32 v67, 4, v68
	v_lshrrev_b32_e32 v72, 4, v69
	;; [unrolled: 1-line block ×5, first 2 shown]
	v_add3_u32 v1, v1, v29, v32
	v_mul_hi_u32 v29, 0x1a41a41b, v67
	v_mul_hi_u32 v32, 0x1a41a41b, v72
	;; [unrolled: 1-line block ×5, first 2 shown]
	v_lshrrev_b32_e32 v22, 2, v22
	v_lshlrev_b64 v[0:1], 3, v[0:1]
	ds_read2_b32 v[66:67], v66 offset0:112 offset1:164
	v_lshrrev_b32_e32 v29, 2, v29
	v_lshrrev_b32_e32 v32, 2, v32
	v_mul_u32_u24_e32 v22, 0x270, v22
	v_lshrrev_b32_e32 v72, 2, v72
	v_lshrrev_b32_e32 v73, 2, v73
	;; [unrolled: 1-line block ×3, first 2 shown]
	v_mul_u32_u24_e32 v74, 0x270, v29
	v_mul_u32_u24_e32 v75, 0x270, v32
	v_sub_nc_u32_e32 v22, v24, v22
	v_add_co_u32 v0, vcc_lo, s10, v0
	v_mul_u32_u24_e32 v76, 0x270, v72
	v_mul_u32_u24_e32 v77, 0x270, v73
	v_sub_nc_u32_e32 v74, v68, v74
	v_sub_nc_u32_e32 v75, v69, v75
	v_add_co_ci_u32_e32 v1, vcc_lo, s11, v1, vcc_lo
	v_add_nc_u32_e32 v85, 0x270, v22
	v_add_co_u32 v0, vcc_lo, v0, v14
	v_sub_nc_u32_e32 v70, v70, v76
	v_sub_nc_u32_e32 v71, v71, v77
	v_mad_u32_u24 v87, 0x4e0, v29, v74
	v_mad_u32_u24 v88, 0x4e0, v32, v75
	v_add_co_ci_u32_e32 v1, vcc_lo, v1, v15, vcc_lo
	v_mad_u64_u32 v[14:15], null, s2, v22, 0
	v_mad_u64_u32 v[68:69], null, s2, v85, 0
	v_mad_u32_u24 v89, 0x4e0, v72, v70
	v_mad_u32_u24 v106, 0x4e0, v73, v71
	v_mad_u64_u32 v[70:71], null, s2, v87, 0
	v_add_nc_u32_e32 v90, 0x270, v87
	v_mad_u64_u32 v[72:73], null, s2, v88, 0
	v_add_nc_u32_e32 v91, 0x270, v88
	v_mad_u64_u32 v[74:75], null, s2, v89, 0
	s_waitcnt lgkmcnt(5)
	v_mad_u64_u32 v[78:79], null, s3, v22, v[15:16]
	v_add_nc_u32_e32 v107, 0x270, v89
	v_mov_b32_e32 v15, v69
	v_mad_u64_u32 v[79:80], null, s2, v90, 0
	v_mad_u64_u32 v[81:82], null, s2, v91, 0
	v_mov_b32_e32 v22, v71
	v_mov_b32_e32 v29, v73
	v_mad_u64_u32 v[83:84], null, s2, v107, 0
	v_mad_u64_u32 v[85:86], null, s3, v85, v[15:16]
	v_mov_b32_e32 v32, v75
	v_mad_u64_u32 v[86:87], null, s3, v87, v[22:23]
	v_mov_b32_e32 v22, v80
	v_mov_b32_e32 v15, v78
	v_mad_u64_u32 v[76:77], null, s2, v106, 0
	v_mov_b32_e32 v69, v85
	v_add_nc_u32_e32 v108, 0x270, v106
	v_lshlrev_b64 v[14:15], 3, v[14:15]
	v_mov_b32_e32 v71, v86
	v_lshlrev_b64 v[68:69], 3, v[68:69]
	v_add_co_u32 v14, vcc_lo, v0, v14
	v_lshlrev_b64 v[70:71], 3, v[70:71]
	v_add_co_ci_u32_e32 v15, vcc_lo, v1, v15, vcc_lo
	v_add_co_u32 v68, vcc_lo, v0, v68
	v_add_co_ci_u32_e32 v69, vcc_lo, v1, v69, vcc_lo
	v_add_co_u32 v70, vcc_lo, v0, v70
	v_add_co_ci_u32_e32 v71, vcc_lo, v1, v71, vcc_lo
	s_waitcnt vmcnt(3)
	v_mad_u64_u32 v[87:88], null, s3, v88, v[29:30]
	v_mov_b32_e32 v29, v82
	v_mad_u64_u32 v[88:89], null, s3, v89, v[32:33]
	v_mov_b32_e32 v32, v84
	v_mad_u64_u32 v[84:85], null, s3, v90, v[22:23]
	v_mad_u64_u32 v[89:90], null, s3, v91, v[29:30]
	;; [unrolled: 1-line block ×3, first 2 shown]
	v_mul_f32_e32 v22, v13, v48
	s_waitcnt lgkmcnt(1)
	v_mul_f32_e32 v29, v28, v48
	v_mov_b32_e32 v80, v84
	v_mul_f32_e32 v32, v12, v34
	v_mov_b32_e32 v82, v89
	v_mul_f32_e32 v48, v11, v44
	s_waitcnt lgkmcnt(0)
	v_mul_f32_e32 v44, v67, v44
	v_lshlrev_b64 v[78:79], 3, v[79:80]
	v_mov_b32_e32 v73, v87
	v_lshlrev_b64 v[80:81], 3, v[81:82]
	v_mul_f32_e32 v82, v10, v46
	v_mul_f32_e32 v46, v66, v46
	;; [unrolled: 1-line block ×3, first 2 shown]
	v_fmac_f32_e32 v29, v13, v47
	v_fma_f32 v13, v33, v27, -v32
	v_fma_f32 v27, v43, v67, -v48
	v_fmac_f32_e32 v44, v11, v43
	v_fma_f32 v32, v45, v66, -v82
	v_fmac_f32_e32 v46, v10, v45
	v_lshlrev_b64 v[72:73], 3, v[72:73]
	v_fma_f32 v22, v47, v28, -v22
	v_fmac_f32_e32 v34, v12, v33
	v_sub_f32_e32 v10, v59, v29
	v_sub_f32_e32 v28, v99, v27
	;; [unrolled: 1-line block ×5, first 2 shown]
	v_add_co_u32 v72, vcc_lo, v0, v72
	v_add_co_ci_u32_e32 v73, vcc_lo, v1, v73, vcc_lo
	v_sub_f32_e32 v12, v58, v34
	v_fma_f32 v43, v59, 2.0, -v10
	v_fma_f32 v47, v57, 2.0, -v27
	;; [unrolled: 1-line block ×4, first 2 shown]
	v_mul_f32_e32 v59, v6, v65
	s_waitcnt vmcnt(1)
	v_mul_f32_e32 v67, v3, v42
	v_mul_f32_e32 v42, v26, v42
	v_add_co_u32 v78, vcc_lo, v0, v78
	v_sub_f32_e32 v11, v103, v22
	v_fma_f32 v48, v99, 2.0, -v28
	v_mul_f32_e32 v22, v9, v36
	v_mul_f32_e32 v66, v4, v63
	s_waitcnt vmcnt(0)
	v_mul_f32_e32 v82, v2, v40
	v_mul_f32_e32 v40, v25, v40
	v_add_co_ci_u32_e32 v79, vcc_lo, v1, v79, vcc_lo
	v_mov_b32_e32 v75, v88
	v_fma_f32 v45, v58, 2.0, -v12
	v_mul_f32_e32 v29, v17, v36
	v_mul_f32_e32 v34, v8, v38
	;; [unrolled: 1-line block ×6, first 2 shown]
	global_store_dwordx2 v[14:15], v[56:57], off
	global_store_dwordx2 v[68:69], v[32:33], off
	;; [unrolled: 1-line block ×4, first 2 shown]
	v_fma_f32 v15, v64, v18, -v59
	v_fma_f32 v18, v41, v26, -v67
	v_fmac_f32_e32 v42, v3, v41
	v_mul_f32_e32 v65, v5, v31
	v_mul_f32_e32 v63, v20, v63
	v_fma_f32 v14, v35, v17, -v22
	v_fma_f32 v17, v62, v20, -v66
	;; [unrolled: 1-line block ×3, first 2 shown]
	v_fmac_f32_e32 v40, v2, v39
	v_lshlrev_b64 v[74:75], 3, v[74:75]
	v_fmac_f32_e32 v36, v8, v37
	v_fma_f32 v8, v60, v19, -v38
	v_sub_f32_e32 v19, v101, v18
	v_sub_f32_e32 v18, v49, v42
	v_add_co_u32 v80, vcc_lo, v0, v80
	v_sub_f32_e32 v13, v100, v13
	v_mul_f32_e32 v31, v21, v31
	v_fmac_f32_e32 v29, v9, v35
	v_fma_f32 v9, v37, v16, -v34
	v_fma_f32 v16, v30, v21, -v65
	v_sub_f32_e32 v21, v102, v20
	v_sub_f32_e32 v20, v23, v40
	v_fmac_f32_e32 v63, v4, v62
	v_add_co_ci_u32_e32 v81, vcc_lo, v1, v81, vcc_lo
	v_mov_b32_e32 v41, v77
	v_mad_u64_u32 v[47:48], null, s2, v108, 0
	v_fma_f32 v37, v49, 2.0, -v18
	v_add_co_u32 v22, vcc_lo, v0, v74
	v_mul_u32_u24_e32 v49, 0x270, v105
	v_fma_f32 v44, v103, 2.0, -v11
	v_fma_f32 v46, v100, 2.0, -v13
	;; [unrolled: 1-line block ×3, first 2 shown]
	v_add_co_ci_u32_e32 v23, vcc_lo, v1, v75, vcc_lo
	v_fmac_f32_e32 v31, v5, v30
	v_sub_f32_e32 v5, v93, v9
	v_sub_f32_e32 v9, v95, v15
	;; [unrolled: 1-line block ×4, first 2 shown]
	v_mad_u64_u32 v[41:42], null, s3, v106, v[41:42]
	v_sub_nc_u32_e32 v42, v104, v49
	global_store_dwordx2 v[72:73], v[45:46], off
	global_store_dwordx2 v[80:81], v[12:13], off
	global_store_dwordx2 v[22:23], v[43:44], off
	v_mov_b32_e32 v22, v48
	v_fma_f32 v35, v50, 2.0, -v16
	v_add_nc_u32_e32 v50, 0x138, v24
	v_mad_u32_u24 v49, 0x4e0, v105, v42
	v_mov_b32_e32 v77, v41
	v_mad_u64_u32 v[22:23], null, s3, v108, v[22:23]
	v_lshrrev_b32_e32 v23, 4, v50
	v_mad_u64_u32 v[41:42], null, s2, v49, 0
	v_fmac_f32_e32 v58, v7, v60
	v_fmac_f32_e32 v61, v6, v64
	v_sub_f32_e32 v3, v92, v14
	v_sub_f32_e32 v14, v51, v31
	v_mul_hi_u32 v23, 0x1a41a41b, v23
	v_sub_f32_e32 v7, v94, v8
	v_sub_f32_e32 v6, v53, v58
	;; [unrolled: 1-line block ×3, first 2 shown]
	v_mov_b32_e32 v84, v90
	v_fma_f32 v33, v51, 2.0, -v14
	v_add_nc_u32_e32 v51, 0x270, v49
	v_mov_b32_e32 v48, v22
	v_mov_b32_e32 v22, v42
	v_sub_f32_e32 v2, v55, v29
	v_sub_f32_e32 v4, v54, v36
	v_fma_f32 v29, v53, 2.0, -v6
	v_fma_f32 v31, v52, 2.0, -v8
	v_lshrrev_b32_e32 v52, 2, v23
	v_add_nc_u32_e32 v53, 0x16c, v24
	v_lshlrev_b64 v[12:13], 3, v[83:84]
	v_mad_u64_u32 v[45:46], null, s2, v51, 0
	v_mad_u64_u32 v[22:23], null, s3, v49, v[22:23]
	v_lshlrev_b64 v[43:44], 3, v[76:77]
	v_fma_f32 v27, v54, 2.0, -v4
	v_mul_u32_u24_e32 v42, 0x270, v52
	v_lshrrev_b32_e32 v54, 4, v53
	v_add_co_u32 v12, vcc_lo, v0, v12
	v_lshlrev_b64 v[47:48], 3, v[47:48]
	v_add_co_ci_u32_e32 v13, vcc_lo, v1, v13, vcc_lo
	v_add_co_u32 v43, vcc_lo, v0, v43
	v_mov_b32_e32 v23, v46
	v_sub_nc_u32_e32 v50, v50, v42
	v_mov_b32_e32 v42, v22
	v_mul_hi_u32 v22, 0x1a41a41b, v54
	v_add_co_ci_u32_e32 v44, vcc_lo, v1, v44, vcc_lo
	v_add_co_u32 v46, vcc_lo, v0, v47
	v_add_co_ci_u32_e32 v47, vcc_lo, v1, v48, vcc_lo
	v_mad_u64_u32 v[48:49], null, s3, v51, v[23:24]
	v_mad_u32_u24 v49, 0x4e0, v52, v50
	v_fma_f32 v40, v102, 2.0, -v21
	global_store_dwordx2 v[12:13], v[10:11], off
	v_lshlrev_b64 v[10:11], 3, v[41:42]
	v_lshrrev_b32_e32 v42, 2, v22
	v_add_nc_u32_e32 v41, 0x270, v49
	global_store_dwordx2 v[43:44], v[39:40], off
	global_store_dwordx2 v[46:47], v[20:21], off
	v_mov_b32_e32 v46, v48
	v_mad_u64_u32 v[12:13], null, s2, v49, 0
	v_mul_u32_u24_e32 v22, 0x270, v42
	v_mad_u64_u32 v[20:21], null, s2, v41, 0
	v_add_nc_u32_e32 v44, 0x1a0, v24
	v_add_co_u32 v10, vcc_lo, v0, v10
	v_sub_nc_u32_e32 v43, v53, v22
	v_lshlrev_b64 v[22:23], 3, v[45:46]
	v_mad_u64_u32 v[39:40], null, s3, v49, v[13:14]
	v_add_co_ci_u32_e32 v11, vcc_lo, v1, v11, vcc_lo
	v_mad_u32_u24 v43, 0x4e0, v42, v43
	v_mad_u64_u32 v[40:41], null, s3, v41, v[21:22]
	v_lshrrev_b32_e32 v21, 4, v44
	v_mov_b32_e32 v13, v39
	v_mad_u64_u32 v[41:42], null, s2, v43, 0
	v_add_co_u32 v22, vcc_lo, v0, v22
	v_mul_hi_u32 v39, 0x1a41a41b, v21
	v_fma_f32 v38, v101, 2.0, -v19
	v_add_co_ci_u32_e32 v23, vcc_lo, v1, v23, vcc_lo
	global_store_dwordx2 v[10:11], v[37:38], off
	global_store_dwordx2 v[22:23], v[18:19], off
	v_lshlrev_b64 v[10:11], 3, v[12:13]
	v_mov_b32_e32 v12, v42
	v_lshrrev_b32_e32 v23, 2, v39
	v_mov_b32_e32 v21, v40
	v_add_nc_u32_e32 v22, 0x270, v43
	v_add_nc_u32_e32 v38, 0x1d4, v24
	v_mad_u64_u32 v[12:13], null, s3, v43, v[12:13]
	v_mul_u32_u24_e32 v13, 0x270, v23
	v_lshlrev_b64 v[18:19], 3, v[20:21]
	v_mad_u64_u32 v[20:21], null, s2, v22, 0
	v_sub_f32_e32 v17, v97, v17
	v_sub_nc_u32_e32 v37, v44, v13
	v_add_co_u32 v10, vcc_lo, v0, v10
	v_mov_b32_e32 v42, v12
	v_fma_f32 v36, v97, 2.0, -v17
	v_mov_b32_e32 v13, v21
	v_mad_u32_u24 v37, 0x4e0, v23, v37
	v_add_co_ci_u32_e32 v11, vcc_lo, v1, v11, vcc_lo
	v_add_co_u32 v18, vcc_lo, v0, v18
	v_mad_u64_u32 v[12:13], null, s3, v22, v[13:14]
	v_mad_u64_u32 v[22:23], null, s2, v37, 0
	v_lshrrev_b32_e32 v13, 4, v38
	v_add_co_ci_u32_e32 v19, vcc_lo, v1, v19, vcc_lo
	global_store_dwordx2 v[10:11], v[35:36], off
	v_add_nc_u32_e32 v35, 0x270, v37
	v_mul_hi_u32 v13, 0x1a41a41b, v13
	v_mov_b32_e32 v21, v12
	v_mov_b32_e32 v12, v23
	global_store_dwordx2 v[18:19], v[16:17], off
	v_lshlrev_b64 v[10:11], 3, v[41:42]
	v_mad_u64_u32 v[16:17], null, s2, v35, 0
	v_lshlrev_b64 v[18:19], 3, v[20:21]
	v_lshrrev_b32_e32 v36, 2, v13
	v_mad_u64_u32 v[12:13], null, s3, v37, v[12:13]
	v_add_nc_u32_e32 v37, 0x208, v24
	v_add_co_u32 v10, vcc_lo, v0, v10
	v_add_co_ci_u32_e32 v11, vcc_lo, v1, v11, vcc_lo
	v_mov_b32_e32 v13, v17
	v_mul_u32_u24_e32 v21, 0x270, v36
	v_add_co_u32 v17, vcc_lo, v0, v18
	v_fma_f32 v34, v96, 2.0, -v15
	v_mov_b32_e32 v23, v12
	v_lshrrev_b32_e32 v12, 4, v37
	v_add_co_ci_u32_e32 v18, vcc_lo, v1, v19, vcc_lo
	v_mad_u64_u32 v[19:20], null, s3, v35, v[13:14]
	v_sub_nc_u32_e32 v13, v38, v21
	global_store_dwordx2 v[10:11], v[33:34], off
	global_store_dwordx2 v[17:18], v[14:15], off
	v_mul_hi_u32 v14, 0x1a41a41b, v12
	v_add_nc_u32_e32 v20, 0x23c, v24
	v_lshlrev_b64 v[10:11], 3, v[22:23]
	v_mad_u32_u24 v18, 0x4e0, v36, v13
	v_mov_b32_e32 v17, v19
	v_fma_f32 v32, v95, 2.0, -v9
	v_lshrrev_b32_e32 v23, 4, v20
	v_fma_f32 v30, v94, 2.0, -v7
	v_lshrrev_b32_e32 v19, 2, v14
	v_mad_u64_u32 v[12:13], null, s2, v18, 0
	v_lshlrev_b64 v[14:15], 3, v[16:17]
	v_add_nc_u32_e32 v21, 0x270, v18
	v_mul_u32_u24_e32 v22, 0x270, v19
	v_mul_hi_u32 v23, 0x1a41a41b, v23
	v_add_co_u32 v10, vcc_lo, v0, v10
	v_mad_u64_u32 v[16:17], null, s3, v18, v[13:14]
	v_sub_nc_u32_e32 v22, v37, v22
	v_mad_u64_u32 v[17:18], null, s2, v21, 0
	v_add_co_ci_u32_e32 v11, vcc_lo, v1, v11, vcc_lo
	v_add_co_u32 v14, vcc_lo, v0, v14
	v_mad_u32_u24 v19, 0x4e0, v19, v22
	v_add_co_ci_u32_e32 v15, vcc_lo, v1, v15, vcc_lo
	v_lshrrev_b32_e32 v22, 2, v23
	v_mov_b32_e32 v13, v16
	global_store_dwordx2 v[10:11], v[31:32], off
	v_mov_b32_e32 v10, v18
	v_add_nc_u32_e32 v18, 0x270, v19
	global_store_dwordx2 v[14:15], v[8:9], off
	v_mul_u32_u24_e32 v15, 0x270, v22
	v_lshlrev_b64 v[8:9], 3, v[12:13]
	v_mad_u64_u32 v[11:12], null, s2, v19, 0
	v_mad_u64_u32 v[13:14], null, s2, v18, 0
	v_sub_nc_u32_e32 v20, v20, v15
	v_add_co_u32 v8, vcc_lo, v0, v8
	v_add_co_ci_u32_e32 v9, vcc_lo, v1, v9, vcc_lo
	v_mad_u64_u32 v[15:16], null, s3, v21, v[10:11]
	v_mad_u32_u24 v24, 0x4e0, v22, v20
	v_mov_b32_e32 v10, v14
	v_mad_u64_u32 v[19:20], null, s3, v19, v[12:13]
	global_store_dwordx2 v[8:9], v[29:30], off
	v_mad_u64_u32 v[20:21], null, s2, v24, 0
	v_add_nc_u32_e32 v31, 0x270, v24
	v_mad_u64_u32 v[22:23], null, s3, v18, v[10:11]
	v_mov_b32_e32 v18, v15
	v_mov_b32_e32 v12, v19
	v_mad_u64_u32 v[15:16], null, s2, v31, 0
	v_mov_b32_e32 v8, v21
	v_lshlrev_b64 v[9:10], 3, v[17:18]
	v_mov_b32_e32 v14, v22
	v_lshlrev_b64 v[11:12], 3, v[11:12]
	v_fma_f32 v28, v93, 2.0, -v5
	v_fma_f32 v26, v92, 2.0, -v3
	;; [unrolled: 1-line block ×3, first 2 shown]
	v_mad_u64_u32 v[17:18], null, s3, v24, v[8:9]
	v_mov_b32_e32 v8, v16
	v_add_co_u32 v9, vcc_lo, v0, v9
	v_lshlrev_b64 v[13:14], 3, v[13:14]
	v_add_co_ci_u32_e32 v10, vcc_lo, v1, v10, vcc_lo
	v_mad_u64_u32 v[18:19], null, s3, v31, v[8:9]
	v_mov_b32_e32 v21, v17
	v_add_co_u32 v11, vcc_lo, v0, v11
	v_add_co_ci_u32_e32 v12, vcc_lo, v1, v12, vcc_lo
	v_lshlrev_b64 v[19:20], 3, v[20:21]
	v_mov_b32_e32 v16, v18
	v_add_co_u32 v13, vcc_lo, v0, v13
	v_add_co_ci_u32_e32 v14, vcc_lo, v1, v14, vcc_lo
	v_lshlrev_b64 v[15:16], 3, v[15:16]
	v_add_co_u32 v17, vcc_lo, v0, v19
	v_add_co_ci_u32_e32 v18, vcc_lo, v1, v20, vcc_lo
	v_add_co_u32 v0, vcc_lo, v0, v15
	v_add_co_ci_u32_e32 v1, vcc_lo, v1, v16, vcc_lo
	global_store_dwordx2 v[9:10], v[6:7], off
	global_store_dwordx2 v[11:12], v[27:28], off
	global_store_dwordx2 v[13:14], v[4:5], off
	global_store_dwordx2 v[17:18], v[25:26], off
	global_store_dwordx2 v[0:1], v[2:3], off
.LBB0_23:
	s_endpgm
	.section	.rodata,"a",@progbits
	.p2align	6, 0x0
	.amdhsa_kernel fft_rtc_back_len1248_factors_2_2_13_2_3_2_2_wgs_52_tpt_52_halfLds_sp_op_CI_CI_sbrr_dirReg
		.amdhsa_group_segment_fixed_size 0
		.amdhsa_private_segment_fixed_size 0
		.amdhsa_kernarg_size 104
		.amdhsa_user_sgpr_count 6
		.amdhsa_user_sgpr_private_segment_buffer 1
		.amdhsa_user_sgpr_dispatch_ptr 0
		.amdhsa_user_sgpr_queue_ptr 0
		.amdhsa_user_sgpr_kernarg_segment_ptr 1
		.amdhsa_user_sgpr_dispatch_id 0
		.amdhsa_user_sgpr_flat_scratch_init 0
		.amdhsa_user_sgpr_private_segment_size 0
		.amdhsa_wavefront_size32 1
		.amdhsa_uses_dynamic_stack 0
		.amdhsa_system_sgpr_private_segment_wavefront_offset 0
		.amdhsa_system_sgpr_workgroup_id_x 1
		.amdhsa_system_sgpr_workgroup_id_y 0
		.amdhsa_system_sgpr_workgroup_id_z 0
		.amdhsa_system_sgpr_workgroup_info 0
		.amdhsa_system_vgpr_workitem_id 0
		.amdhsa_next_free_vgpr 168
		.amdhsa_next_free_sgpr 31
		.amdhsa_reserve_vcc 1
		.amdhsa_reserve_flat_scratch 0
		.amdhsa_float_round_mode_32 0
		.amdhsa_float_round_mode_16_64 0
		.amdhsa_float_denorm_mode_32 3
		.amdhsa_float_denorm_mode_16_64 3
		.amdhsa_dx10_clamp 1
		.amdhsa_ieee_mode 1
		.amdhsa_fp16_overflow 0
		.amdhsa_workgroup_processor_mode 1
		.amdhsa_memory_ordered 1
		.amdhsa_forward_progress 0
		.amdhsa_shared_vgpr_count 0
		.amdhsa_exception_fp_ieee_invalid_op 0
		.amdhsa_exception_fp_denorm_src 0
		.amdhsa_exception_fp_ieee_div_zero 0
		.amdhsa_exception_fp_ieee_overflow 0
		.amdhsa_exception_fp_ieee_underflow 0
		.amdhsa_exception_fp_ieee_inexact 0
		.amdhsa_exception_int_div_zero 0
	.end_amdhsa_kernel
	.text
.Lfunc_end0:
	.size	fft_rtc_back_len1248_factors_2_2_13_2_3_2_2_wgs_52_tpt_52_halfLds_sp_op_CI_CI_sbrr_dirReg, .Lfunc_end0-fft_rtc_back_len1248_factors_2_2_13_2_3_2_2_wgs_52_tpt_52_halfLds_sp_op_CI_CI_sbrr_dirReg
                                        ; -- End function
	.section	.AMDGPU.csdata,"",@progbits
; Kernel info:
; codeLenInByte = 20364
; NumSgprs: 33
; NumVgprs: 168
; ScratchSize: 0
; MemoryBound: 0
; FloatMode: 240
; IeeeMode: 1
; LDSByteSize: 0 bytes/workgroup (compile time only)
; SGPRBlocks: 4
; VGPRBlocks: 20
; NumSGPRsForWavesPerEU: 33
; NumVGPRsForWavesPerEU: 168
; Occupancy: 5
; WaveLimiterHint : 1
; COMPUTE_PGM_RSRC2:SCRATCH_EN: 0
; COMPUTE_PGM_RSRC2:USER_SGPR: 6
; COMPUTE_PGM_RSRC2:TRAP_HANDLER: 0
; COMPUTE_PGM_RSRC2:TGID_X_EN: 1
; COMPUTE_PGM_RSRC2:TGID_Y_EN: 0
; COMPUTE_PGM_RSRC2:TGID_Z_EN: 0
; COMPUTE_PGM_RSRC2:TIDIG_COMP_CNT: 0
	.text
	.p2alignl 6, 3214868480
	.fill 48, 4, 3214868480
	.type	__hip_cuid_971ba36eda73f685,@object ; @__hip_cuid_971ba36eda73f685
	.section	.bss,"aw",@nobits
	.globl	__hip_cuid_971ba36eda73f685
__hip_cuid_971ba36eda73f685:
	.byte	0                               ; 0x0
	.size	__hip_cuid_971ba36eda73f685, 1

	.ident	"AMD clang version 19.0.0git (https://github.com/RadeonOpenCompute/llvm-project roc-6.4.0 25133 c7fe45cf4b819c5991fe208aaa96edf142730f1d)"
	.section	".note.GNU-stack","",@progbits
	.addrsig
	.addrsig_sym __hip_cuid_971ba36eda73f685
	.amdgpu_metadata
---
amdhsa.kernels:
  - .args:
      - .actual_access:  read_only
        .address_space:  global
        .offset:         0
        .size:           8
        .value_kind:     global_buffer
      - .offset:         8
        .size:           8
        .value_kind:     by_value
      - .actual_access:  read_only
        .address_space:  global
        .offset:         16
        .size:           8
        .value_kind:     global_buffer
      - .actual_access:  read_only
        .address_space:  global
        .offset:         24
        .size:           8
        .value_kind:     global_buffer
      - .actual_access:  read_only
        .address_space:  global
        .offset:         32
        .size:           8
        .value_kind:     global_buffer
      - .offset:         40
        .size:           8
        .value_kind:     by_value
      - .actual_access:  read_only
        .address_space:  global
        .offset:         48
        .size:           8
        .value_kind:     global_buffer
      - .actual_access:  read_only
        .address_space:  global
        .offset:         56
        .size:           8
        .value_kind:     global_buffer
      - .offset:         64
        .size:           4
        .value_kind:     by_value
      - .actual_access:  read_only
        .address_space:  global
        .offset:         72
        .size:           8
        .value_kind:     global_buffer
      - .actual_access:  read_only
        .address_space:  global
        .offset:         80
        .size:           8
        .value_kind:     global_buffer
      - .actual_access:  read_only
        .address_space:  global
        .offset:         88
        .size:           8
        .value_kind:     global_buffer
      - .actual_access:  write_only
        .address_space:  global
        .offset:         96
        .size:           8
        .value_kind:     global_buffer
    .group_segment_fixed_size: 0
    .kernarg_segment_align: 8
    .kernarg_segment_size: 104
    .language:       OpenCL C
    .language_version:
      - 2
      - 0
    .max_flat_workgroup_size: 52
    .name:           fft_rtc_back_len1248_factors_2_2_13_2_3_2_2_wgs_52_tpt_52_halfLds_sp_op_CI_CI_sbrr_dirReg
    .private_segment_fixed_size: 0
    .sgpr_count:     33
    .sgpr_spill_count: 0
    .symbol:         fft_rtc_back_len1248_factors_2_2_13_2_3_2_2_wgs_52_tpt_52_halfLds_sp_op_CI_CI_sbrr_dirReg.kd
    .uniform_work_group_size: 1
    .uses_dynamic_stack: false
    .vgpr_count:     168
    .vgpr_spill_count: 0
    .wavefront_size: 32
    .workgroup_processor_mode: 1
amdhsa.target:   amdgcn-amd-amdhsa--gfx1030
amdhsa.version:
  - 1
  - 2
...

	.end_amdgpu_metadata
